;; amdgpu-corpus repo=llvm/llvm-project kind=harvested arch=n/a opt=n/a
// NOTE: Assertions have been autogenerated by utils/update_mc_test_checks.py UTC_ARGS: --unique --sort --version 6
// RUN: llvm-mc -triple=amdgcn -mcpu=bonaire -show-encoding %s | FileCheck %s

v_bfrev_b32 v255, v1
// CHECK: v_bfrev_b32_e32 v255, v1                ; encoding: [0x01,0x71,0xfe,0x7f]

v_bfrev_b32 v5, -1
// CHECK: v_bfrev_b32_e32 v5, -1                  ; encoding: [0xc1,0x70,0x0a,0x7e]

v_bfrev_b32 v5, -4.0
// CHECK: v_bfrev_b32_e32 v5, -4.0                ; encoding: [0xf7,0x70,0x0a,0x7e]

v_bfrev_b32 v5, 0
// CHECK: v_bfrev_b32_e32 v5, 0                   ; encoding: [0x80,0x70,0x0a,0x7e]

v_bfrev_b32 v5, 0.5
// CHECK: v_bfrev_b32_e32 v5, 0.5                 ; encoding: [0xf0,0x70,0x0a,0x7e]

v_bfrev_b32 v5, 0x3f717273
// CHECK: v_bfrev_b32_e32 v5, 0x3f717273          ; encoding: [0xff,0x70,0x0a,0x7e,0x73,0x72,0x71,0x3f]

v_bfrev_b32 v5, 0xaf123456
// CHECK: v_bfrev_b32_e32 v5, 0xaf123456          ; encoding: [0xff,0x70,0x0a,0x7e,0x56,0x34,0x12,0xaf]

v_bfrev_b32 v5, exec_hi
// CHECK: v_bfrev_b32_e32 v5, exec_hi             ; encoding: [0x7f,0x70,0x0a,0x7e]

v_bfrev_b32 v5, exec_lo
// CHECK: v_bfrev_b32_e32 v5, exec_lo             ; encoding: [0x7e,0x70,0x0a,0x7e]

v_bfrev_b32 v5, flat_scratch_hi
// CHECK: v_bfrev_b32_e32 v5, flat_scratch_hi     ; encoding: [0x69,0x70,0x0a,0x7e]

v_bfrev_b32 v5, flat_scratch_lo
// CHECK: v_bfrev_b32_e32 v5, flat_scratch_lo     ; encoding: [0x68,0x70,0x0a,0x7e]

v_bfrev_b32 v5, m0
// CHECK: v_bfrev_b32_e32 v5, m0                  ; encoding: [0x7c,0x70,0x0a,0x7e]

v_bfrev_b32 v5, s1
// CHECK: v_bfrev_b32_e32 v5, s1                  ; encoding: [0x01,0x70,0x0a,0x7e]

v_bfrev_b32 v5, s103
// CHECK: v_bfrev_b32_e32 v5, s103                ; encoding: [0x67,0x70,0x0a,0x7e]

v_bfrev_b32 v5, src_execz
// CHECK: v_bfrev_b32_e32 v5, src_execz           ; encoding: [0xfc,0x70,0x0a,0x7e]

v_bfrev_b32 v5, src_lds_direct
// CHECK: v_bfrev_b32_e32 v5, src_lds_direct      ; encoding: [0xfe,0x70,0x0a,0x7e]

v_bfrev_b32 v5, src_scc
// CHECK: v_bfrev_b32_e32 v5, src_scc             ; encoding: [0xfd,0x70,0x0a,0x7e]

v_bfrev_b32 v5, src_vccz
// CHECK: v_bfrev_b32_e32 v5, src_vccz            ; encoding: [0xfb,0x70,0x0a,0x7e]

v_bfrev_b32 v5, tba_hi
// CHECK: v_bfrev_b32_e32 v5, tba_hi              ; encoding: [0x6d,0x70,0x0a,0x7e]

v_bfrev_b32 v5, tba_lo
// CHECK: v_bfrev_b32_e32 v5, tba_lo              ; encoding: [0x6c,0x70,0x0a,0x7e]

v_bfrev_b32 v5, tma_hi
// CHECK: v_bfrev_b32_e32 v5, tma_hi              ; encoding: [0x6f,0x70,0x0a,0x7e]

v_bfrev_b32 v5, tma_lo
// CHECK: v_bfrev_b32_e32 v5, tma_lo              ; encoding: [0x6e,0x70,0x0a,0x7e]

v_bfrev_b32 v5, ttmp11
// CHECK: v_bfrev_b32_e32 v5, ttmp11              ; encoding: [0x7b,0x70,0x0a,0x7e]

v_bfrev_b32 v5, v1
// CHECK: v_bfrev_b32_e32 v5, v1                  ; encoding: [0x01,0x71,0x0a,0x7e]

v_bfrev_b32 v5, v255
// CHECK: v_bfrev_b32_e32 v5, v255                ; encoding: [0xff,0x71,0x0a,0x7e]

v_bfrev_b32 v5, vcc_hi
// CHECK: v_bfrev_b32_e32 v5, vcc_hi              ; encoding: [0x6b,0x70,0x0a,0x7e]

v_bfrev_b32 v5, vcc_lo
// CHECK: v_bfrev_b32_e32 v5, vcc_lo              ; encoding: [0x6a,0x70,0x0a,0x7e]

v_ceil_f32 v255, v1
// CHECK: v_ceil_f32_e32 v255, v1                 ; encoding: [0x01,0x45,0xfe,0x7f]

v_ceil_f32 v5, -1
// CHECK: v_ceil_f32_e32 v5, -1                   ; encoding: [0xc1,0x44,0x0a,0x7e]

v_ceil_f32 v5, -4.0
// CHECK: v_ceil_f32_e32 v5, -4.0                 ; encoding: [0xf7,0x44,0x0a,0x7e]

v_ceil_f32 v5, 0
// CHECK: v_ceil_f32_e32 v5, 0                    ; encoding: [0x80,0x44,0x0a,0x7e]

v_ceil_f32 v5, 0.5
// CHECK: v_ceil_f32_e32 v5, 0.5                  ; encoding: [0xf0,0x44,0x0a,0x7e]

v_ceil_f32 v5, 0x3f717273
// CHECK: v_ceil_f32_e32 v5, 0x3f717273           ; encoding: [0xff,0x44,0x0a,0x7e,0x73,0x72,0x71,0x3f]

v_ceil_f32 v5, 0xaf123456
// CHECK: v_ceil_f32_e32 v5, 0xaf123456           ; encoding: [0xff,0x44,0x0a,0x7e,0x56,0x34,0x12,0xaf]

v_ceil_f32 v5, exec_hi
// CHECK: v_ceil_f32_e32 v5, exec_hi              ; encoding: [0x7f,0x44,0x0a,0x7e]

v_ceil_f32 v5, exec_lo
// CHECK: v_ceil_f32_e32 v5, exec_lo              ; encoding: [0x7e,0x44,0x0a,0x7e]

v_ceil_f32 v5, flat_scratch_hi
// CHECK: v_ceil_f32_e32 v5, flat_scratch_hi      ; encoding: [0x69,0x44,0x0a,0x7e]

v_ceil_f32 v5, flat_scratch_lo
// CHECK: v_ceil_f32_e32 v5, flat_scratch_lo      ; encoding: [0x68,0x44,0x0a,0x7e]

v_ceil_f32 v5, m0
// CHECK: v_ceil_f32_e32 v5, m0                   ; encoding: [0x7c,0x44,0x0a,0x7e]

v_ceil_f32 v5, s1
// CHECK: v_ceil_f32_e32 v5, s1                   ; encoding: [0x01,0x44,0x0a,0x7e]

v_ceil_f32 v5, s103
// CHECK: v_ceil_f32_e32 v5, s103                 ; encoding: [0x67,0x44,0x0a,0x7e]

v_ceil_f32 v5, src_execz
// CHECK: v_ceil_f32_e32 v5, src_execz            ; encoding: [0xfc,0x44,0x0a,0x7e]

v_ceil_f32 v5, src_lds_direct
// CHECK: v_ceil_f32_e32 v5, src_lds_direct       ; encoding: [0xfe,0x44,0x0a,0x7e]

v_ceil_f32 v5, src_scc
// CHECK: v_ceil_f32_e32 v5, src_scc              ; encoding: [0xfd,0x44,0x0a,0x7e]

v_ceil_f32 v5, src_vccz
// CHECK: v_ceil_f32_e32 v5, src_vccz             ; encoding: [0xfb,0x44,0x0a,0x7e]

v_ceil_f32 v5, tba_hi
// CHECK: v_ceil_f32_e32 v5, tba_hi               ; encoding: [0x6d,0x44,0x0a,0x7e]

v_ceil_f32 v5, tba_lo
// CHECK: v_ceil_f32_e32 v5, tba_lo               ; encoding: [0x6c,0x44,0x0a,0x7e]

v_ceil_f32 v5, tma_hi
// CHECK: v_ceil_f32_e32 v5, tma_hi               ; encoding: [0x6f,0x44,0x0a,0x7e]

v_ceil_f32 v5, tma_lo
// CHECK: v_ceil_f32_e32 v5, tma_lo               ; encoding: [0x6e,0x44,0x0a,0x7e]

v_ceil_f32 v5, ttmp11
// CHECK: v_ceil_f32_e32 v5, ttmp11               ; encoding: [0x7b,0x44,0x0a,0x7e]

v_ceil_f32 v5, v1
// CHECK: v_ceil_f32_e32 v5, v1                   ; encoding: [0x01,0x45,0x0a,0x7e]

v_ceil_f32 v5, v255
// CHECK: v_ceil_f32_e32 v5, v255                 ; encoding: [0xff,0x45,0x0a,0x7e]

v_ceil_f32 v5, vcc_hi
// CHECK: v_ceil_f32_e32 v5, vcc_hi               ; encoding: [0x6b,0x44,0x0a,0x7e]

v_ceil_f32 v5, vcc_lo
// CHECK: v_ceil_f32_e32 v5, vcc_lo               ; encoding: [0x6a,0x44,0x0a,0x7e]

v_ceil_f64 v[254:255], v[1:2]
// CHECK: v_ceil_f64_e32 v[254:255], v[1:2]       ; encoding: [0x01,0x31,0xfc,0x7f]

v_ceil_f64 v[5:6], -1
// CHECK: v_ceil_f64_e32 v[5:6], -1               ; encoding: [0xc1,0x30,0x0a,0x7e]

v_ceil_f64 v[5:6], -4.0
// CHECK: v_ceil_f64_e32 v[5:6], -4.0             ; encoding: [0xf7,0x30,0x0a,0x7e]

v_ceil_f64 v[5:6], 0
// CHECK: v_ceil_f64_e32 v[5:6], 0                ; encoding: [0x80,0x30,0x0a,0x7e]

v_ceil_f64 v[5:6], 0.5
// CHECK: v_ceil_f64_e32 v[5:6], 0.5              ; encoding: [0xf0,0x30,0x0a,0x7e]

v_ceil_f64 v[5:6], 0x3f717273
// CHECK: v_ceil_f64_e32 v[5:6], 0x3f717273       ; encoding: [0xff,0x30,0x0a,0x7e,0x73,0x72,0x71,0x3f]

v_ceil_f64 v[5:6], 0xaf123456
// CHECK: v_ceil_f64_e32 v[5:6], 0xaf123456       ; encoding: [0xff,0x30,0x0a,0x7e,0x56,0x34,0x12,0xaf]

v_ceil_f64 v[5:6], exec
// CHECK: v_ceil_f64_e32 v[5:6], exec             ; encoding: [0x7e,0x30,0x0a,0x7e]

v_ceil_f64 v[5:6], flat_scratch
// CHECK: v_ceil_f64_e32 v[5:6], flat_scratch     ; encoding: [0x68,0x30,0x0a,0x7e]

v_ceil_f64 v[5:6], s[102:103]
// CHECK: v_ceil_f64_e32 v[5:6], s[102:103]       ; encoding: [0x66,0x30,0x0a,0x7e]

v_ceil_f64 v[5:6], s[2:3]
// CHECK: v_ceil_f64_e32 v[5:6], s[2:3]           ; encoding: [0x02,0x30,0x0a,0x7e]

v_ceil_f64 v[5:6], s[4:5]
// CHECK: v_ceil_f64_e32 v[5:6], s[4:5]           ; encoding: [0x04,0x30,0x0a,0x7e]

v_ceil_f64 v[5:6], src_execz
// CHECK: v_ceil_f64_e32 v[5:6], src_execz        ; encoding: [0xfc,0x30,0x0a,0x7e]

v_ceil_f64 v[5:6], src_scc
// CHECK: v_ceil_f64_e32 v[5:6], src_scc          ; encoding: [0xfd,0x30,0x0a,0x7e]

v_ceil_f64 v[5:6], src_vccz
// CHECK: v_ceil_f64_e32 v[5:6], src_vccz         ; encoding: [0xfb,0x30,0x0a,0x7e]

v_ceil_f64 v[5:6], tba
// CHECK: v_ceil_f64_e32 v[5:6], tba              ; encoding: [0x6c,0x30,0x0a,0x7e]

v_ceil_f64 v[5:6], tma
// CHECK: v_ceil_f64_e32 v[5:6], tma              ; encoding: [0x6e,0x30,0x0a,0x7e]

v_ceil_f64 v[5:6], ttmp[10:11]
// CHECK: v_ceil_f64_e32 v[5:6], ttmp[10:11]      ; encoding: [0x7a,0x30,0x0a,0x7e]

v_ceil_f64 v[5:6], v[1:2]
// CHECK: v_ceil_f64_e32 v[5:6], v[1:2]           ; encoding: [0x01,0x31,0x0a,0x7e]

v_ceil_f64 v[5:6], v[254:255]
// CHECK: v_ceil_f64_e32 v[5:6], v[254:255]       ; encoding: [0xfe,0x31,0x0a,0x7e]

v_ceil_f64 v[5:6], vcc
// CHECK: v_ceil_f64_e32 v[5:6], vcc              ; encoding: [0x6a,0x30,0x0a,0x7e]

v_clrexcp
// CHECK: v_clrexcp                               ; encoding: [0x00,0x82,0x00,0x7e]

v_cos_f32 v255, v1
// CHECK: v_cos_f32_e32 v255, v1                  ; encoding: [0x01,0x6d,0xfe,0x7f]

v_cos_f32 v5, -1
// CHECK: v_cos_f32_e32 v5, -1                    ; encoding: [0xc1,0x6c,0x0a,0x7e]

v_cos_f32 v5, -4.0
// CHECK: v_cos_f32_e32 v5, -4.0                  ; encoding: [0xf7,0x6c,0x0a,0x7e]

v_cos_f32 v5, 0
// CHECK: v_cos_f32_e32 v5, 0                     ; encoding: [0x80,0x6c,0x0a,0x7e]

v_cos_f32 v5, 0.5
// CHECK: v_cos_f32_e32 v5, 0.5                   ; encoding: [0xf0,0x6c,0x0a,0x7e]

v_cos_f32 v5, 0x3f717273
// CHECK: v_cos_f32_e32 v5, 0x3f717273            ; encoding: [0xff,0x6c,0x0a,0x7e,0x73,0x72,0x71,0x3f]

v_cos_f32 v5, 0xaf123456
// CHECK: v_cos_f32_e32 v5, 0xaf123456            ; encoding: [0xff,0x6c,0x0a,0x7e,0x56,0x34,0x12,0xaf]

v_cos_f32 v5, exec_hi
// CHECK: v_cos_f32_e32 v5, exec_hi               ; encoding: [0x7f,0x6c,0x0a,0x7e]

v_cos_f32 v5, exec_lo
// CHECK: v_cos_f32_e32 v5, exec_lo               ; encoding: [0x7e,0x6c,0x0a,0x7e]

v_cos_f32 v5, flat_scratch_hi
// CHECK: v_cos_f32_e32 v5, flat_scratch_hi       ; encoding: [0x69,0x6c,0x0a,0x7e]

v_cos_f32 v5, flat_scratch_lo
// CHECK: v_cos_f32_e32 v5, flat_scratch_lo       ; encoding: [0x68,0x6c,0x0a,0x7e]

v_cos_f32 v5, m0
// CHECK: v_cos_f32_e32 v5, m0                    ; encoding: [0x7c,0x6c,0x0a,0x7e]

v_cos_f32 v5, s1
// CHECK: v_cos_f32_e32 v5, s1                    ; encoding: [0x01,0x6c,0x0a,0x7e]

v_cos_f32 v5, s103
// CHECK: v_cos_f32_e32 v5, s103                  ; encoding: [0x67,0x6c,0x0a,0x7e]

v_cos_f32 v5, src_execz
// CHECK: v_cos_f32_e32 v5, src_execz             ; encoding: [0xfc,0x6c,0x0a,0x7e]

v_cos_f32 v5, src_lds_direct
// CHECK: v_cos_f32_e32 v5, src_lds_direct        ; encoding: [0xfe,0x6c,0x0a,0x7e]

v_cos_f32 v5, src_scc
// CHECK: v_cos_f32_e32 v5, src_scc               ; encoding: [0xfd,0x6c,0x0a,0x7e]

v_cos_f32 v5, src_vccz
// CHECK: v_cos_f32_e32 v5, src_vccz              ; encoding: [0xfb,0x6c,0x0a,0x7e]

v_cos_f32 v5, tba_hi
// CHECK: v_cos_f32_e32 v5, tba_hi                ; encoding: [0x6d,0x6c,0x0a,0x7e]

v_cos_f32 v5, tba_lo
// CHECK: v_cos_f32_e32 v5, tba_lo                ; encoding: [0x6c,0x6c,0x0a,0x7e]

v_cos_f32 v5, tma_hi
// CHECK: v_cos_f32_e32 v5, tma_hi                ; encoding: [0x6f,0x6c,0x0a,0x7e]

v_cos_f32 v5, tma_lo
// CHECK: v_cos_f32_e32 v5, tma_lo                ; encoding: [0x6e,0x6c,0x0a,0x7e]

v_cos_f32 v5, ttmp11
// CHECK: v_cos_f32_e32 v5, ttmp11                ; encoding: [0x7b,0x6c,0x0a,0x7e]

v_cos_f32 v5, v1
// CHECK: v_cos_f32_e32 v5, v1                    ; encoding: [0x01,0x6d,0x0a,0x7e]

v_cos_f32 v5, v255
// CHECK: v_cos_f32_e32 v5, v255                  ; encoding: [0xff,0x6d,0x0a,0x7e]

v_cos_f32 v5, vcc_hi
// CHECK: v_cos_f32_e32 v5, vcc_hi                ; encoding: [0x6b,0x6c,0x0a,0x7e]

v_cos_f32 v5, vcc_lo
// CHECK: v_cos_f32_e32 v5, vcc_lo                ; encoding: [0x6a,0x6c,0x0a,0x7e]

v_cvt_f16_f32 v255, v1
// CHECK: v_cvt_f16_f32_e32 v255, v1              ; encoding: [0x01,0x15,0xfe,0x7f]

v_cvt_f16_f32 v5, -1
// CHECK: v_cvt_f16_f32_e32 v5, -1                ; encoding: [0xc1,0x14,0x0a,0x7e]

v_cvt_f16_f32 v5, -4.0
// CHECK: v_cvt_f16_f32_e32 v5, -4.0              ; encoding: [0xf7,0x14,0x0a,0x7e]

v_cvt_f16_f32 v5, 0
// CHECK: v_cvt_f16_f32_e32 v5, 0                 ; encoding: [0x80,0x14,0x0a,0x7e]

v_cvt_f16_f32 v5, 0.5
// CHECK: v_cvt_f16_f32_e32 v5, 0.5               ; encoding: [0xf0,0x14,0x0a,0x7e]

v_cvt_f16_f32 v5, 0x3f717273
// CHECK: v_cvt_f16_f32_e32 v5, 0x3f717273        ; encoding: [0xff,0x14,0x0a,0x7e,0x73,0x72,0x71,0x3f]

v_cvt_f16_f32 v5, 0xaf123456
// CHECK: v_cvt_f16_f32_e32 v5, 0xaf123456        ; encoding: [0xff,0x14,0x0a,0x7e,0x56,0x34,0x12,0xaf]

v_cvt_f16_f32 v5, exec_hi
// CHECK: v_cvt_f16_f32_e32 v5, exec_hi           ; encoding: [0x7f,0x14,0x0a,0x7e]

v_cvt_f16_f32 v5, exec_lo
// CHECK: v_cvt_f16_f32_e32 v5, exec_lo           ; encoding: [0x7e,0x14,0x0a,0x7e]

v_cvt_f16_f32 v5, flat_scratch_hi
// CHECK: v_cvt_f16_f32_e32 v5, flat_scratch_hi   ; encoding: [0x69,0x14,0x0a,0x7e]

v_cvt_f16_f32 v5, flat_scratch_lo
// CHECK: v_cvt_f16_f32_e32 v5, flat_scratch_lo   ; encoding: [0x68,0x14,0x0a,0x7e]

v_cvt_f16_f32 v5, m0
// CHECK: v_cvt_f16_f32_e32 v5, m0                ; encoding: [0x7c,0x14,0x0a,0x7e]

v_cvt_f16_f32 v5, s1
// CHECK: v_cvt_f16_f32_e32 v5, s1                ; encoding: [0x01,0x14,0x0a,0x7e]

v_cvt_f16_f32 v5, s103
// CHECK: v_cvt_f16_f32_e32 v5, s103              ; encoding: [0x67,0x14,0x0a,0x7e]

v_cvt_f16_f32 v5, src_execz
// CHECK: v_cvt_f16_f32_e32 v5, src_execz         ; encoding: [0xfc,0x14,0x0a,0x7e]

v_cvt_f16_f32 v5, src_lds_direct
// CHECK: v_cvt_f16_f32_e32 v5, src_lds_direct    ; encoding: [0xfe,0x14,0x0a,0x7e]

v_cvt_f16_f32 v5, src_scc
// CHECK: v_cvt_f16_f32_e32 v5, src_scc           ; encoding: [0xfd,0x14,0x0a,0x7e]

v_cvt_f16_f32 v5, src_vccz
// CHECK: v_cvt_f16_f32_e32 v5, src_vccz          ; encoding: [0xfb,0x14,0x0a,0x7e]

v_cvt_f16_f32 v5, tba_hi
// CHECK: v_cvt_f16_f32_e32 v5, tba_hi            ; encoding: [0x6d,0x14,0x0a,0x7e]

v_cvt_f16_f32 v5, tba_lo
// CHECK: v_cvt_f16_f32_e32 v5, tba_lo            ; encoding: [0x6c,0x14,0x0a,0x7e]

v_cvt_f16_f32 v5, tma_hi
// CHECK: v_cvt_f16_f32_e32 v5, tma_hi            ; encoding: [0x6f,0x14,0x0a,0x7e]

v_cvt_f16_f32 v5, tma_lo
// CHECK: v_cvt_f16_f32_e32 v5, tma_lo            ; encoding: [0x6e,0x14,0x0a,0x7e]

v_cvt_f16_f32 v5, ttmp11
// CHECK: v_cvt_f16_f32_e32 v5, ttmp11            ; encoding: [0x7b,0x14,0x0a,0x7e]

v_cvt_f16_f32 v5, v1
// CHECK: v_cvt_f16_f32_e32 v5, v1                ; encoding: [0x01,0x15,0x0a,0x7e]

v_cvt_f16_f32 v5, v255
// CHECK: v_cvt_f16_f32_e32 v5, v255              ; encoding: [0xff,0x15,0x0a,0x7e]

v_cvt_f16_f32 v5, vcc_hi
// CHECK: v_cvt_f16_f32_e32 v5, vcc_hi            ; encoding: [0x6b,0x14,0x0a,0x7e]

v_cvt_f16_f32 v5, vcc_lo
// CHECK: v_cvt_f16_f32_e32 v5, vcc_lo            ; encoding: [0x6a,0x14,0x0a,0x7e]

v_cvt_f32_f16 v255, v1
// CHECK: v_cvt_f32_f16_e32 v255, v1              ; encoding: [0x01,0x17,0xfe,0x7f]

v_cvt_f32_f16 v5, -1
// CHECK: v_cvt_f32_f16_e32 v5, -1                ; encoding: [0xc1,0x16,0x0a,0x7e]

v_cvt_f32_f16 v5, 0
// CHECK: v_cvt_f32_f16_e32 v5, 0                 ; encoding: [0x80,0x16,0x0a,0x7e]

v_cvt_f32_f16 v5, exec_hi
// CHECK: v_cvt_f32_f16_e32 v5, exec_hi           ; encoding: [0x7f,0x16,0x0a,0x7e]

v_cvt_f32_f16 v5, exec_lo
// CHECK: v_cvt_f32_f16_e32 v5, exec_lo           ; encoding: [0x7e,0x16,0x0a,0x7e]

v_cvt_f32_f16 v5, flat_scratch_hi
// CHECK: v_cvt_f32_f16_e32 v5, flat_scratch_hi   ; encoding: [0x69,0x16,0x0a,0x7e]

v_cvt_f32_f16 v5, flat_scratch_lo
// CHECK: v_cvt_f32_f16_e32 v5, flat_scratch_lo   ; encoding: [0x68,0x16,0x0a,0x7e]

v_cvt_f32_f16 v5, m0
// CHECK: v_cvt_f32_f16_e32 v5, m0                ; encoding: [0x7c,0x16,0x0a,0x7e]

v_cvt_f32_f16 v5, s1
// CHECK: v_cvt_f32_f16_e32 v5, s1                ; encoding: [0x01,0x16,0x0a,0x7e]

v_cvt_f32_f16 v5, s103
// CHECK: v_cvt_f32_f16_e32 v5, s103              ; encoding: [0x67,0x16,0x0a,0x7e]

v_cvt_f32_f16 v5, src_execz
// CHECK: v_cvt_f32_f16_e32 v5, src_execz         ; encoding: [0xfc,0x16,0x0a,0x7e]

v_cvt_f32_f16 v5, src_lds_direct
// CHECK: v_cvt_f32_f16_e32 v5, src_lds_direct    ; encoding: [0xfe,0x16,0x0a,0x7e]

v_cvt_f32_f16 v5, src_scc
// CHECK: v_cvt_f32_f16_e32 v5, src_scc           ; encoding: [0xfd,0x16,0x0a,0x7e]

v_cvt_f32_f16 v5, src_vccz
// CHECK: v_cvt_f32_f16_e32 v5, src_vccz          ; encoding: [0xfb,0x16,0x0a,0x7e]

v_cvt_f32_f16 v5, tba_hi
// CHECK: v_cvt_f32_f16_e32 v5, tba_hi            ; encoding: [0x6d,0x16,0x0a,0x7e]

v_cvt_f32_f16 v5, tba_lo
// CHECK: v_cvt_f32_f16_e32 v5, tba_lo            ; encoding: [0x6c,0x16,0x0a,0x7e]

v_cvt_f32_f16 v5, tma_hi
// CHECK: v_cvt_f32_f16_e32 v5, tma_hi            ; encoding: [0x6f,0x16,0x0a,0x7e]

v_cvt_f32_f16 v5, tma_lo
// CHECK: v_cvt_f32_f16_e32 v5, tma_lo            ; encoding: [0x6e,0x16,0x0a,0x7e]

v_cvt_f32_f16 v5, ttmp11
// CHECK: v_cvt_f32_f16_e32 v5, ttmp11            ; encoding: [0x7b,0x16,0x0a,0x7e]

v_cvt_f32_f16 v5, v1
// CHECK: v_cvt_f32_f16_e32 v5, v1                ; encoding: [0x01,0x17,0x0a,0x7e]

v_cvt_f32_f16 v5, v255
// CHECK: v_cvt_f32_f16_e32 v5, v255              ; encoding: [0xff,0x17,0x0a,0x7e]

v_cvt_f32_f16 v5, vcc_hi
// CHECK: v_cvt_f32_f16_e32 v5, vcc_hi            ; encoding: [0x6b,0x16,0x0a,0x7e]

v_cvt_f32_f16 v5, vcc_lo
// CHECK: v_cvt_f32_f16_e32 v5, vcc_lo            ; encoding: [0x6a,0x16,0x0a,0x7e]

v_cvt_f32_f64 v255, v[1:2]
// CHECK: v_cvt_f32_f64_e32 v255, v[1:2]          ; encoding: [0x01,0x1f,0xfe,0x7f]

v_cvt_f32_f64 v5, -1
// CHECK: v_cvt_f32_f64_e32 v5, -1                ; encoding: [0xc1,0x1e,0x0a,0x7e]

v_cvt_f32_f64 v5, -4.0
// CHECK: v_cvt_f32_f64_e32 v5, -4.0              ; encoding: [0xf7,0x1e,0x0a,0x7e]

v_cvt_f32_f64 v5, 0
// CHECK: v_cvt_f32_f64_e32 v5, 0                 ; encoding: [0x80,0x1e,0x0a,0x7e]

v_cvt_f32_f64 v5, 0.5
// CHECK: v_cvt_f32_f64_e32 v5, 0.5               ; encoding: [0xf0,0x1e,0x0a,0x7e]

v_cvt_f32_f64 v5, 0x3f717273
// CHECK: v_cvt_f32_f64_e32 v5, 0x3f717273        ; encoding: [0xff,0x1e,0x0a,0x7e,0x73,0x72,0x71,0x3f]

v_cvt_f32_f64 v5, 0xaf123456
// CHECK: v_cvt_f32_f64_e32 v5, 0xaf123456        ; encoding: [0xff,0x1e,0x0a,0x7e,0x56,0x34,0x12,0xaf]

v_cvt_f32_f64 v5, exec
// CHECK: v_cvt_f32_f64_e32 v5, exec              ; encoding: [0x7e,0x1e,0x0a,0x7e]

v_cvt_f32_f64 v5, flat_scratch
// CHECK: v_cvt_f32_f64_e32 v5, flat_scratch      ; encoding: [0x68,0x1e,0x0a,0x7e]

v_cvt_f32_f64 v5, s[102:103]
// CHECK: v_cvt_f32_f64_e32 v5, s[102:103]        ; encoding: [0x66,0x1e,0x0a,0x7e]

v_cvt_f32_f64 v5, s[2:3]
// CHECK: v_cvt_f32_f64_e32 v5, s[2:3]            ; encoding: [0x02,0x1e,0x0a,0x7e]

v_cvt_f32_f64 v5, s[4:5]
// CHECK: v_cvt_f32_f64_e32 v5, s[4:5]            ; encoding: [0x04,0x1e,0x0a,0x7e]

v_cvt_f32_f64 v5, src_execz
// CHECK: v_cvt_f32_f64_e32 v5, src_execz         ; encoding: [0xfc,0x1e,0x0a,0x7e]

v_cvt_f32_f64 v5, src_scc
// CHECK: v_cvt_f32_f64_e32 v5, src_scc           ; encoding: [0xfd,0x1e,0x0a,0x7e]

v_cvt_f32_f64 v5, src_vccz
// CHECK: v_cvt_f32_f64_e32 v5, src_vccz          ; encoding: [0xfb,0x1e,0x0a,0x7e]

v_cvt_f32_f64 v5, tba
// CHECK: v_cvt_f32_f64_e32 v5, tba               ; encoding: [0x6c,0x1e,0x0a,0x7e]

v_cvt_f32_f64 v5, tma
// CHECK: v_cvt_f32_f64_e32 v5, tma               ; encoding: [0x6e,0x1e,0x0a,0x7e]

v_cvt_f32_f64 v5, ttmp[10:11]
// CHECK: v_cvt_f32_f64_e32 v5, ttmp[10:11]       ; encoding: [0x7a,0x1e,0x0a,0x7e]

v_cvt_f32_f64 v5, v[1:2]
// CHECK: v_cvt_f32_f64_e32 v5, v[1:2]            ; encoding: [0x01,0x1f,0x0a,0x7e]

v_cvt_f32_f64 v5, v[254:255]
// CHECK: v_cvt_f32_f64_e32 v5, v[254:255]        ; encoding: [0xfe,0x1f,0x0a,0x7e]

v_cvt_f32_f64 v5, vcc
// CHECK: v_cvt_f32_f64_e32 v5, vcc               ; encoding: [0x6a,0x1e,0x0a,0x7e]

v_cvt_f32_i32 v255, v1
// CHECK: v_cvt_f32_i32_e32 v255, v1              ; encoding: [0x01,0x0b,0xfe,0x7f]

v_cvt_f32_i32 v5, -1
// CHECK: v_cvt_f32_i32_e32 v5, -1                ; encoding: [0xc1,0x0a,0x0a,0x7e]

v_cvt_f32_i32 v5, -4.0
// CHECK: v_cvt_f32_i32_e32 v5, -4.0              ; encoding: [0xf7,0x0a,0x0a,0x7e]

v_cvt_f32_i32 v5, 0
// CHECK: v_cvt_f32_i32_e32 v5, 0                 ; encoding: [0x80,0x0a,0x0a,0x7e]

v_cvt_f32_i32 v5, 0.5
// CHECK: v_cvt_f32_i32_e32 v5, 0.5               ; encoding: [0xf0,0x0a,0x0a,0x7e]

v_cvt_f32_i32 v5, 0x3f717273
// CHECK: v_cvt_f32_i32_e32 v5, 0x3f717273        ; encoding: [0xff,0x0a,0x0a,0x7e,0x73,0x72,0x71,0x3f]

v_cvt_f32_i32 v5, 0xaf123456
// CHECK: v_cvt_f32_i32_e32 v5, 0xaf123456        ; encoding: [0xff,0x0a,0x0a,0x7e,0x56,0x34,0x12,0xaf]

v_cvt_f32_i32 v5, exec_hi
// CHECK: v_cvt_f32_i32_e32 v5, exec_hi           ; encoding: [0x7f,0x0a,0x0a,0x7e]

v_cvt_f32_i32 v5, exec_lo
// CHECK: v_cvt_f32_i32_e32 v5, exec_lo           ; encoding: [0x7e,0x0a,0x0a,0x7e]

v_cvt_f32_i32 v5, flat_scratch_hi
// CHECK: v_cvt_f32_i32_e32 v5, flat_scratch_hi   ; encoding: [0x69,0x0a,0x0a,0x7e]

v_cvt_f32_i32 v5, flat_scratch_lo
// CHECK: v_cvt_f32_i32_e32 v5, flat_scratch_lo   ; encoding: [0x68,0x0a,0x0a,0x7e]

v_cvt_f32_i32 v5, m0
// CHECK: v_cvt_f32_i32_e32 v5, m0                ; encoding: [0x7c,0x0a,0x0a,0x7e]

v_cvt_f32_i32 v5, s1
// CHECK: v_cvt_f32_i32_e32 v5, s1                ; encoding: [0x01,0x0a,0x0a,0x7e]

v_cvt_f32_i32 v5, s103
// CHECK: v_cvt_f32_i32_e32 v5, s103              ; encoding: [0x67,0x0a,0x0a,0x7e]

v_cvt_f32_i32 v5, src_execz
// CHECK: v_cvt_f32_i32_e32 v5, src_execz         ; encoding: [0xfc,0x0a,0x0a,0x7e]

v_cvt_f32_i32 v5, src_lds_direct
// CHECK: v_cvt_f32_i32_e32 v5, src_lds_direct    ; encoding: [0xfe,0x0a,0x0a,0x7e]

v_cvt_f32_i32 v5, src_scc
// CHECK: v_cvt_f32_i32_e32 v5, src_scc           ; encoding: [0xfd,0x0a,0x0a,0x7e]

v_cvt_f32_i32 v5, src_vccz
// CHECK: v_cvt_f32_i32_e32 v5, src_vccz          ; encoding: [0xfb,0x0a,0x0a,0x7e]

v_cvt_f32_i32 v5, tba_hi
// CHECK: v_cvt_f32_i32_e32 v5, tba_hi            ; encoding: [0x6d,0x0a,0x0a,0x7e]

v_cvt_f32_i32 v5, tba_lo
// CHECK: v_cvt_f32_i32_e32 v5, tba_lo            ; encoding: [0x6c,0x0a,0x0a,0x7e]

v_cvt_f32_i32 v5, tma_hi
// CHECK: v_cvt_f32_i32_e32 v5, tma_hi            ; encoding: [0x6f,0x0a,0x0a,0x7e]

v_cvt_f32_i32 v5, tma_lo
// CHECK: v_cvt_f32_i32_e32 v5, tma_lo            ; encoding: [0x6e,0x0a,0x0a,0x7e]

v_cvt_f32_i32 v5, ttmp11
// CHECK: v_cvt_f32_i32_e32 v5, ttmp11            ; encoding: [0x7b,0x0a,0x0a,0x7e]

v_cvt_f32_i32 v5, v1
// CHECK: v_cvt_f32_i32_e32 v5, v1                ; encoding: [0x01,0x0b,0x0a,0x7e]

v_cvt_f32_i32 v5, v255
// CHECK: v_cvt_f32_i32_e32 v5, v255              ; encoding: [0xff,0x0b,0x0a,0x7e]

v_cvt_f32_i32 v5, vcc_hi
// CHECK: v_cvt_f32_i32_e32 v5, vcc_hi            ; encoding: [0x6b,0x0a,0x0a,0x7e]

v_cvt_f32_i32 v5, vcc_lo
// CHECK: v_cvt_f32_i32_e32 v5, vcc_lo            ; encoding: [0x6a,0x0a,0x0a,0x7e]

v_cvt_f32_u32 v255, v1
// CHECK: v_cvt_f32_u32_e32 v255, v1              ; encoding: [0x01,0x0d,0xfe,0x7f]

v_cvt_f32_u32 v5, -1
// CHECK: v_cvt_f32_u32_e32 v5, -1                ; encoding: [0xc1,0x0c,0x0a,0x7e]

v_cvt_f32_u32 v5, -4.0
// CHECK: v_cvt_f32_u32_e32 v5, -4.0              ; encoding: [0xf7,0x0c,0x0a,0x7e]

v_cvt_f32_u32 v5, 0
// CHECK: v_cvt_f32_u32_e32 v5, 0                 ; encoding: [0x80,0x0c,0x0a,0x7e]

v_cvt_f32_u32 v5, 0.5
// CHECK: v_cvt_f32_u32_e32 v5, 0.5               ; encoding: [0xf0,0x0c,0x0a,0x7e]

v_cvt_f32_u32 v5, 0x3f717273
// CHECK: v_cvt_f32_u32_e32 v5, 0x3f717273        ; encoding: [0xff,0x0c,0x0a,0x7e,0x73,0x72,0x71,0x3f]

v_cvt_f32_u32 v5, 0xaf123456
// CHECK: v_cvt_f32_u32_e32 v5, 0xaf123456        ; encoding: [0xff,0x0c,0x0a,0x7e,0x56,0x34,0x12,0xaf]

v_cvt_f32_u32 v5, exec_hi
// CHECK: v_cvt_f32_u32_e32 v5, exec_hi           ; encoding: [0x7f,0x0c,0x0a,0x7e]

v_cvt_f32_u32 v5, exec_lo
// CHECK: v_cvt_f32_u32_e32 v5, exec_lo           ; encoding: [0x7e,0x0c,0x0a,0x7e]

v_cvt_f32_u32 v5, flat_scratch_hi
// CHECK: v_cvt_f32_u32_e32 v5, flat_scratch_hi   ; encoding: [0x69,0x0c,0x0a,0x7e]

v_cvt_f32_u32 v5, flat_scratch_lo
// CHECK: v_cvt_f32_u32_e32 v5, flat_scratch_lo   ; encoding: [0x68,0x0c,0x0a,0x7e]

v_cvt_f32_u32 v5, m0
// CHECK: v_cvt_f32_u32_e32 v5, m0                ; encoding: [0x7c,0x0c,0x0a,0x7e]

v_cvt_f32_u32 v5, s1
// CHECK: v_cvt_f32_u32_e32 v5, s1                ; encoding: [0x01,0x0c,0x0a,0x7e]

v_cvt_f32_u32 v5, s103
// CHECK: v_cvt_f32_u32_e32 v5, s103              ; encoding: [0x67,0x0c,0x0a,0x7e]

v_cvt_f32_u32 v5, src_execz
// CHECK: v_cvt_f32_u32_e32 v5, src_execz         ; encoding: [0xfc,0x0c,0x0a,0x7e]

v_cvt_f32_u32 v5, src_lds_direct
// CHECK: v_cvt_f32_u32_e32 v5, src_lds_direct    ; encoding: [0xfe,0x0c,0x0a,0x7e]

v_cvt_f32_u32 v5, src_scc
// CHECK: v_cvt_f32_u32_e32 v5, src_scc           ; encoding: [0xfd,0x0c,0x0a,0x7e]

v_cvt_f32_u32 v5, src_vccz
// CHECK: v_cvt_f32_u32_e32 v5, src_vccz          ; encoding: [0xfb,0x0c,0x0a,0x7e]

v_cvt_f32_u32 v5, tba_hi
// CHECK: v_cvt_f32_u32_e32 v5, tba_hi            ; encoding: [0x6d,0x0c,0x0a,0x7e]

v_cvt_f32_u32 v5, tba_lo
// CHECK: v_cvt_f32_u32_e32 v5, tba_lo            ; encoding: [0x6c,0x0c,0x0a,0x7e]

v_cvt_f32_u32 v5, tma_hi
// CHECK: v_cvt_f32_u32_e32 v5, tma_hi            ; encoding: [0x6f,0x0c,0x0a,0x7e]

v_cvt_f32_u32 v5, tma_lo
// CHECK: v_cvt_f32_u32_e32 v5, tma_lo            ; encoding: [0x6e,0x0c,0x0a,0x7e]

v_cvt_f32_u32 v5, ttmp11
// CHECK: v_cvt_f32_u32_e32 v5, ttmp11            ; encoding: [0x7b,0x0c,0x0a,0x7e]

v_cvt_f32_u32 v5, v1
// CHECK: v_cvt_f32_u32_e32 v5, v1                ; encoding: [0x01,0x0d,0x0a,0x7e]

v_cvt_f32_u32 v5, v255
// CHECK: v_cvt_f32_u32_e32 v5, v255              ; encoding: [0xff,0x0d,0x0a,0x7e]

v_cvt_f32_u32 v5, vcc_hi
// CHECK: v_cvt_f32_u32_e32 v5, vcc_hi            ; encoding: [0x6b,0x0c,0x0a,0x7e]

v_cvt_f32_u32 v5, vcc_lo
// CHECK: v_cvt_f32_u32_e32 v5, vcc_lo            ; encoding: [0x6a,0x0c,0x0a,0x7e]

v_cvt_f32_ubyte0 v255, v1
// CHECK: v_cvt_f32_ubyte0_e32 v255, v1           ; encoding: [0x01,0x23,0xfe,0x7f]

v_cvt_f32_ubyte0 v5, -1
// CHECK: v_cvt_f32_ubyte0_e32 v5, -1             ; encoding: [0xc1,0x22,0x0a,0x7e]

v_cvt_f32_ubyte0 v5, -4.0
// CHECK: v_cvt_f32_ubyte0_e32 v5, -4.0           ; encoding: [0xf7,0x22,0x0a,0x7e]

v_cvt_f32_ubyte0 v5, 0
// CHECK: v_cvt_f32_ubyte0_e32 v5, 0              ; encoding: [0x80,0x22,0x0a,0x7e]

v_cvt_f32_ubyte0 v5, 0.5
// CHECK: v_cvt_f32_ubyte0_e32 v5, 0.5            ; encoding: [0xf0,0x22,0x0a,0x7e]

v_cvt_f32_ubyte0 v5, 0x3f717273
// CHECK: v_cvt_f32_ubyte0_e32 v5, 0x3f717273     ; encoding: [0xff,0x22,0x0a,0x7e,0x73,0x72,0x71,0x3f]

v_cvt_f32_ubyte0 v5, 0xaf123456
// CHECK: v_cvt_f32_ubyte0_e32 v5, 0xaf123456     ; encoding: [0xff,0x22,0x0a,0x7e,0x56,0x34,0x12,0xaf]

v_cvt_f32_ubyte0 v5, exec_hi
// CHECK: v_cvt_f32_ubyte0_e32 v5, exec_hi        ; encoding: [0x7f,0x22,0x0a,0x7e]

v_cvt_f32_ubyte0 v5, exec_lo
// CHECK: v_cvt_f32_ubyte0_e32 v5, exec_lo        ; encoding: [0x7e,0x22,0x0a,0x7e]

v_cvt_f32_ubyte0 v5, flat_scratch_hi
// CHECK: v_cvt_f32_ubyte0_e32 v5, flat_scratch_hi ; encoding: [0x69,0x22,0x0a,0x7e]

v_cvt_f32_ubyte0 v5, flat_scratch_lo
// CHECK: v_cvt_f32_ubyte0_e32 v5, flat_scratch_lo ; encoding: [0x68,0x22,0x0a,0x7e]

v_cvt_f32_ubyte0 v5, m0
// CHECK: v_cvt_f32_ubyte0_e32 v5, m0             ; encoding: [0x7c,0x22,0x0a,0x7e]

v_cvt_f32_ubyte0 v5, s1
// CHECK: v_cvt_f32_ubyte0_e32 v5, s1             ; encoding: [0x01,0x22,0x0a,0x7e]

v_cvt_f32_ubyte0 v5, s103
// CHECK: v_cvt_f32_ubyte0_e32 v5, s103           ; encoding: [0x67,0x22,0x0a,0x7e]

v_cvt_f32_ubyte0 v5, src_execz
// CHECK: v_cvt_f32_ubyte0_e32 v5, src_execz      ; encoding: [0xfc,0x22,0x0a,0x7e]

v_cvt_f32_ubyte0 v5, src_lds_direct
// CHECK: v_cvt_f32_ubyte0_e32 v5, src_lds_direct ; encoding: [0xfe,0x22,0x0a,0x7e]

v_cvt_f32_ubyte0 v5, src_scc
// CHECK: v_cvt_f32_ubyte0_e32 v5, src_scc        ; encoding: [0xfd,0x22,0x0a,0x7e]

v_cvt_f32_ubyte0 v5, src_vccz
// CHECK: v_cvt_f32_ubyte0_e32 v5, src_vccz       ; encoding: [0xfb,0x22,0x0a,0x7e]

v_cvt_f32_ubyte0 v5, tba_hi
// CHECK: v_cvt_f32_ubyte0_e32 v5, tba_hi         ; encoding: [0x6d,0x22,0x0a,0x7e]

v_cvt_f32_ubyte0 v5, tba_lo
// CHECK: v_cvt_f32_ubyte0_e32 v5, tba_lo         ; encoding: [0x6c,0x22,0x0a,0x7e]

v_cvt_f32_ubyte0 v5, tma_hi
// CHECK: v_cvt_f32_ubyte0_e32 v5, tma_hi         ; encoding: [0x6f,0x22,0x0a,0x7e]

v_cvt_f32_ubyte0 v5, tma_lo
// CHECK: v_cvt_f32_ubyte0_e32 v5, tma_lo         ; encoding: [0x6e,0x22,0x0a,0x7e]

v_cvt_f32_ubyte0 v5, ttmp11
// CHECK: v_cvt_f32_ubyte0_e32 v5, ttmp11         ; encoding: [0x7b,0x22,0x0a,0x7e]

v_cvt_f32_ubyte0 v5, v1
// CHECK: v_cvt_f32_ubyte0_e32 v5, v1             ; encoding: [0x01,0x23,0x0a,0x7e]

v_cvt_f32_ubyte0 v5, v255
// CHECK: v_cvt_f32_ubyte0_e32 v5, v255           ; encoding: [0xff,0x23,0x0a,0x7e]

v_cvt_f32_ubyte0 v5, vcc_hi
// CHECK: v_cvt_f32_ubyte0_e32 v5, vcc_hi         ; encoding: [0x6b,0x22,0x0a,0x7e]

v_cvt_f32_ubyte0 v5, vcc_lo
// CHECK: v_cvt_f32_ubyte0_e32 v5, vcc_lo         ; encoding: [0x6a,0x22,0x0a,0x7e]

v_cvt_f32_ubyte1 v255, v1
// CHECK: v_cvt_f32_ubyte1_e32 v255, v1           ; encoding: [0x01,0x25,0xfe,0x7f]

v_cvt_f32_ubyte1 v5, -1
// CHECK: v_cvt_f32_ubyte1_e32 v5, -1             ; encoding: [0xc1,0x24,0x0a,0x7e]

v_cvt_f32_ubyte1 v5, -4.0
// CHECK: v_cvt_f32_ubyte1_e32 v5, -4.0           ; encoding: [0xf7,0x24,0x0a,0x7e]

v_cvt_f32_ubyte1 v5, 0
// CHECK: v_cvt_f32_ubyte1_e32 v5, 0              ; encoding: [0x80,0x24,0x0a,0x7e]

v_cvt_f32_ubyte1 v5, 0.5
// CHECK: v_cvt_f32_ubyte1_e32 v5, 0.5            ; encoding: [0xf0,0x24,0x0a,0x7e]

v_cvt_f32_ubyte1 v5, 0x3f717273
// CHECK: v_cvt_f32_ubyte1_e32 v5, 0x3f717273     ; encoding: [0xff,0x24,0x0a,0x7e,0x73,0x72,0x71,0x3f]

v_cvt_f32_ubyte1 v5, 0xaf123456
// CHECK: v_cvt_f32_ubyte1_e32 v5, 0xaf123456     ; encoding: [0xff,0x24,0x0a,0x7e,0x56,0x34,0x12,0xaf]

v_cvt_f32_ubyte1 v5, exec_hi
// CHECK: v_cvt_f32_ubyte1_e32 v5, exec_hi        ; encoding: [0x7f,0x24,0x0a,0x7e]

v_cvt_f32_ubyte1 v5, exec_lo
// CHECK: v_cvt_f32_ubyte1_e32 v5, exec_lo        ; encoding: [0x7e,0x24,0x0a,0x7e]

v_cvt_f32_ubyte1 v5, flat_scratch_hi
// CHECK: v_cvt_f32_ubyte1_e32 v5, flat_scratch_hi ; encoding: [0x69,0x24,0x0a,0x7e]

v_cvt_f32_ubyte1 v5, flat_scratch_lo
// CHECK: v_cvt_f32_ubyte1_e32 v5, flat_scratch_lo ; encoding: [0x68,0x24,0x0a,0x7e]

v_cvt_f32_ubyte1 v5, m0
// CHECK: v_cvt_f32_ubyte1_e32 v5, m0             ; encoding: [0x7c,0x24,0x0a,0x7e]

v_cvt_f32_ubyte1 v5, s1
// CHECK: v_cvt_f32_ubyte1_e32 v5, s1             ; encoding: [0x01,0x24,0x0a,0x7e]

v_cvt_f32_ubyte1 v5, s103
// CHECK: v_cvt_f32_ubyte1_e32 v5, s103           ; encoding: [0x67,0x24,0x0a,0x7e]

v_cvt_f32_ubyte1 v5, src_execz
// CHECK: v_cvt_f32_ubyte1_e32 v5, src_execz      ; encoding: [0xfc,0x24,0x0a,0x7e]

v_cvt_f32_ubyte1 v5, src_lds_direct
// CHECK: v_cvt_f32_ubyte1_e32 v5, src_lds_direct ; encoding: [0xfe,0x24,0x0a,0x7e]

v_cvt_f32_ubyte1 v5, src_scc
// CHECK: v_cvt_f32_ubyte1_e32 v5, src_scc        ; encoding: [0xfd,0x24,0x0a,0x7e]

v_cvt_f32_ubyte1 v5, src_vccz
// CHECK: v_cvt_f32_ubyte1_e32 v5, src_vccz       ; encoding: [0xfb,0x24,0x0a,0x7e]

v_cvt_f32_ubyte1 v5, tba_hi
// CHECK: v_cvt_f32_ubyte1_e32 v5, tba_hi         ; encoding: [0x6d,0x24,0x0a,0x7e]

v_cvt_f32_ubyte1 v5, tba_lo
// CHECK: v_cvt_f32_ubyte1_e32 v5, tba_lo         ; encoding: [0x6c,0x24,0x0a,0x7e]

v_cvt_f32_ubyte1 v5, tma_hi
// CHECK: v_cvt_f32_ubyte1_e32 v5, tma_hi         ; encoding: [0x6f,0x24,0x0a,0x7e]

v_cvt_f32_ubyte1 v5, tma_lo
// CHECK: v_cvt_f32_ubyte1_e32 v5, tma_lo         ; encoding: [0x6e,0x24,0x0a,0x7e]

v_cvt_f32_ubyte1 v5, ttmp11
// CHECK: v_cvt_f32_ubyte1_e32 v5, ttmp11         ; encoding: [0x7b,0x24,0x0a,0x7e]

v_cvt_f32_ubyte1 v5, v1
// CHECK: v_cvt_f32_ubyte1_e32 v5, v1             ; encoding: [0x01,0x25,0x0a,0x7e]

v_cvt_f32_ubyte1 v5, v255
// CHECK: v_cvt_f32_ubyte1_e32 v5, v255           ; encoding: [0xff,0x25,0x0a,0x7e]

v_cvt_f32_ubyte1 v5, vcc_hi
// CHECK: v_cvt_f32_ubyte1_e32 v5, vcc_hi         ; encoding: [0x6b,0x24,0x0a,0x7e]

v_cvt_f32_ubyte1 v5, vcc_lo
// CHECK: v_cvt_f32_ubyte1_e32 v5, vcc_lo         ; encoding: [0x6a,0x24,0x0a,0x7e]

v_cvt_f32_ubyte2 v255, v1
// CHECK: v_cvt_f32_ubyte2_e32 v255, v1           ; encoding: [0x01,0x27,0xfe,0x7f]

v_cvt_f32_ubyte2 v5, -1
// CHECK: v_cvt_f32_ubyte2_e32 v5, -1             ; encoding: [0xc1,0x26,0x0a,0x7e]

v_cvt_f32_ubyte2 v5, -4.0
// CHECK: v_cvt_f32_ubyte2_e32 v5, -4.0           ; encoding: [0xf7,0x26,0x0a,0x7e]

v_cvt_f32_ubyte2 v5, 0
// CHECK: v_cvt_f32_ubyte2_e32 v5, 0              ; encoding: [0x80,0x26,0x0a,0x7e]

v_cvt_f32_ubyte2 v5, 0.5
// CHECK: v_cvt_f32_ubyte2_e32 v5, 0.5            ; encoding: [0xf0,0x26,0x0a,0x7e]

v_cvt_f32_ubyte2 v5, 0x3f717273
// CHECK: v_cvt_f32_ubyte2_e32 v5, 0x3f717273     ; encoding: [0xff,0x26,0x0a,0x7e,0x73,0x72,0x71,0x3f]

v_cvt_f32_ubyte2 v5, 0xaf123456
// CHECK: v_cvt_f32_ubyte2_e32 v5, 0xaf123456     ; encoding: [0xff,0x26,0x0a,0x7e,0x56,0x34,0x12,0xaf]

v_cvt_f32_ubyte2 v5, exec_hi
// CHECK: v_cvt_f32_ubyte2_e32 v5, exec_hi        ; encoding: [0x7f,0x26,0x0a,0x7e]

v_cvt_f32_ubyte2 v5, exec_lo
// CHECK: v_cvt_f32_ubyte2_e32 v5, exec_lo        ; encoding: [0x7e,0x26,0x0a,0x7e]

v_cvt_f32_ubyte2 v5, flat_scratch_hi
// CHECK: v_cvt_f32_ubyte2_e32 v5, flat_scratch_hi ; encoding: [0x69,0x26,0x0a,0x7e]

v_cvt_f32_ubyte2 v5, flat_scratch_lo
// CHECK: v_cvt_f32_ubyte2_e32 v5, flat_scratch_lo ; encoding: [0x68,0x26,0x0a,0x7e]

v_cvt_f32_ubyte2 v5, m0
// CHECK: v_cvt_f32_ubyte2_e32 v5, m0             ; encoding: [0x7c,0x26,0x0a,0x7e]

v_cvt_f32_ubyte2 v5, s1
// CHECK: v_cvt_f32_ubyte2_e32 v5, s1             ; encoding: [0x01,0x26,0x0a,0x7e]

v_cvt_f32_ubyte2 v5, s103
// CHECK: v_cvt_f32_ubyte2_e32 v5, s103           ; encoding: [0x67,0x26,0x0a,0x7e]

v_cvt_f32_ubyte2 v5, src_execz
// CHECK: v_cvt_f32_ubyte2_e32 v5, src_execz      ; encoding: [0xfc,0x26,0x0a,0x7e]

v_cvt_f32_ubyte2 v5, src_lds_direct
// CHECK: v_cvt_f32_ubyte2_e32 v5, src_lds_direct ; encoding: [0xfe,0x26,0x0a,0x7e]

v_cvt_f32_ubyte2 v5, src_scc
// CHECK: v_cvt_f32_ubyte2_e32 v5, src_scc        ; encoding: [0xfd,0x26,0x0a,0x7e]

v_cvt_f32_ubyte2 v5, src_vccz
// CHECK: v_cvt_f32_ubyte2_e32 v5, src_vccz       ; encoding: [0xfb,0x26,0x0a,0x7e]

v_cvt_f32_ubyte2 v5, tba_hi
// CHECK: v_cvt_f32_ubyte2_e32 v5, tba_hi         ; encoding: [0x6d,0x26,0x0a,0x7e]

v_cvt_f32_ubyte2 v5, tba_lo
// CHECK: v_cvt_f32_ubyte2_e32 v5, tba_lo         ; encoding: [0x6c,0x26,0x0a,0x7e]

v_cvt_f32_ubyte2 v5, tma_hi
// CHECK: v_cvt_f32_ubyte2_e32 v5, tma_hi         ; encoding: [0x6f,0x26,0x0a,0x7e]

v_cvt_f32_ubyte2 v5, tma_lo
// CHECK: v_cvt_f32_ubyte2_e32 v5, tma_lo         ; encoding: [0x6e,0x26,0x0a,0x7e]

v_cvt_f32_ubyte2 v5, ttmp11
// CHECK: v_cvt_f32_ubyte2_e32 v5, ttmp11         ; encoding: [0x7b,0x26,0x0a,0x7e]

v_cvt_f32_ubyte2 v5, v1
// CHECK: v_cvt_f32_ubyte2_e32 v5, v1             ; encoding: [0x01,0x27,0x0a,0x7e]

v_cvt_f32_ubyte2 v5, v255
// CHECK: v_cvt_f32_ubyte2_e32 v5, v255           ; encoding: [0xff,0x27,0x0a,0x7e]

v_cvt_f32_ubyte2 v5, vcc_hi
// CHECK: v_cvt_f32_ubyte2_e32 v5, vcc_hi         ; encoding: [0x6b,0x26,0x0a,0x7e]

v_cvt_f32_ubyte2 v5, vcc_lo
// CHECK: v_cvt_f32_ubyte2_e32 v5, vcc_lo         ; encoding: [0x6a,0x26,0x0a,0x7e]

v_cvt_f32_ubyte3 v255, v1
// CHECK: v_cvt_f32_ubyte3_e32 v255, v1           ; encoding: [0x01,0x29,0xfe,0x7f]

v_cvt_f32_ubyte3 v5, -1
// CHECK: v_cvt_f32_ubyte3_e32 v5, -1             ; encoding: [0xc1,0x28,0x0a,0x7e]

v_cvt_f32_ubyte3 v5, -4.0
// CHECK: v_cvt_f32_ubyte3_e32 v5, -4.0           ; encoding: [0xf7,0x28,0x0a,0x7e]

v_cvt_f32_ubyte3 v5, 0
// CHECK: v_cvt_f32_ubyte3_e32 v5, 0              ; encoding: [0x80,0x28,0x0a,0x7e]

v_cvt_f32_ubyte3 v5, 0.5
// CHECK: v_cvt_f32_ubyte3_e32 v5, 0.5            ; encoding: [0xf0,0x28,0x0a,0x7e]

v_cvt_f32_ubyte3 v5, 0x3f717273
// CHECK: v_cvt_f32_ubyte3_e32 v5, 0x3f717273     ; encoding: [0xff,0x28,0x0a,0x7e,0x73,0x72,0x71,0x3f]

v_cvt_f32_ubyte3 v5, 0xaf123456
// CHECK: v_cvt_f32_ubyte3_e32 v5, 0xaf123456     ; encoding: [0xff,0x28,0x0a,0x7e,0x56,0x34,0x12,0xaf]

v_cvt_f32_ubyte3 v5, exec_hi
// CHECK: v_cvt_f32_ubyte3_e32 v5, exec_hi        ; encoding: [0x7f,0x28,0x0a,0x7e]

v_cvt_f32_ubyte3 v5, exec_lo
// CHECK: v_cvt_f32_ubyte3_e32 v5, exec_lo        ; encoding: [0x7e,0x28,0x0a,0x7e]

v_cvt_f32_ubyte3 v5, flat_scratch_hi
// CHECK: v_cvt_f32_ubyte3_e32 v5, flat_scratch_hi ; encoding: [0x69,0x28,0x0a,0x7e]

v_cvt_f32_ubyte3 v5, flat_scratch_lo
// CHECK: v_cvt_f32_ubyte3_e32 v5, flat_scratch_lo ; encoding: [0x68,0x28,0x0a,0x7e]

v_cvt_f32_ubyte3 v5, m0
// CHECK: v_cvt_f32_ubyte3_e32 v5, m0             ; encoding: [0x7c,0x28,0x0a,0x7e]

v_cvt_f32_ubyte3 v5, s1
// CHECK: v_cvt_f32_ubyte3_e32 v5, s1             ; encoding: [0x01,0x28,0x0a,0x7e]

v_cvt_f32_ubyte3 v5, s103
// CHECK: v_cvt_f32_ubyte3_e32 v5, s103           ; encoding: [0x67,0x28,0x0a,0x7e]

v_cvt_f32_ubyte3 v5, src_execz
// CHECK: v_cvt_f32_ubyte3_e32 v5, src_execz      ; encoding: [0xfc,0x28,0x0a,0x7e]

v_cvt_f32_ubyte3 v5, src_lds_direct
// CHECK: v_cvt_f32_ubyte3_e32 v5, src_lds_direct ; encoding: [0xfe,0x28,0x0a,0x7e]

v_cvt_f32_ubyte3 v5, src_scc
// CHECK: v_cvt_f32_ubyte3_e32 v5, src_scc        ; encoding: [0xfd,0x28,0x0a,0x7e]

v_cvt_f32_ubyte3 v5, src_vccz
// CHECK: v_cvt_f32_ubyte3_e32 v5, src_vccz       ; encoding: [0xfb,0x28,0x0a,0x7e]

v_cvt_f32_ubyte3 v5, tba_hi
// CHECK: v_cvt_f32_ubyte3_e32 v5, tba_hi         ; encoding: [0x6d,0x28,0x0a,0x7e]

v_cvt_f32_ubyte3 v5, tba_lo
// CHECK: v_cvt_f32_ubyte3_e32 v5, tba_lo         ; encoding: [0x6c,0x28,0x0a,0x7e]

v_cvt_f32_ubyte3 v5, tma_hi
// CHECK: v_cvt_f32_ubyte3_e32 v5, tma_hi         ; encoding: [0x6f,0x28,0x0a,0x7e]

v_cvt_f32_ubyte3 v5, tma_lo
// CHECK: v_cvt_f32_ubyte3_e32 v5, tma_lo         ; encoding: [0x6e,0x28,0x0a,0x7e]

v_cvt_f32_ubyte3 v5, ttmp11
// CHECK: v_cvt_f32_ubyte3_e32 v5, ttmp11         ; encoding: [0x7b,0x28,0x0a,0x7e]

v_cvt_f32_ubyte3 v5, v1
// CHECK: v_cvt_f32_ubyte3_e32 v5, v1             ; encoding: [0x01,0x29,0x0a,0x7e]

v_cvt_f32_ubyte3 v5, v255
// CHECK: v_cvt_f32_ubyte3_e32 v5, v255           ; encoding: [0xff,0x29,0x0a,0x7e]

v_cvt_f32_ubyte3 v5, vcc_hi
// CHECK: v_cvt_f32_ubyte3_e32 v5, vcc_hi         ; encoding: [0x6b,0x28,0x0a,0x7e]

v_cvt_f32_ubyte3 v5, vcc_lo
// CHECK: v_cvt_f32_ubyte3_e32 v5, vcc_lo         ; encoding: [0x6a,0x28,0x0a,0x7e]

v_cvt_f64_f32 v[254:255], v1
// CHECK: v_cvt_f64_f32_e32 v[254:255], v1        ; encoding: [0x01,0x21,0xfc,0x7f]

v_cvt_f64_f32 v[5:6], -1
// CHECK: v_cvt_f64_f32_e32 v[5:6], -1            ; encoding: [0xc1,0x20,0x0a,0x7e]

v_cvt_f64_f32 v[5:6], -4.0
// CHECK: v_cvt_f64_f32_e32 v[5:6], -4.0          ; encoding: [0xf7,0x20,0x0a,0x7e]

v_cvt_f64_f32 v[5:6], 0
// CHECK: v_cvt_f64_f32_e32 v[5:6], 0             ; encoding: [0x80,0x20,0x0a,0x7e]

v_cvt_f64_f32 v[5:6], 0.5
// CHECK: v_cvt_f64_f32_e32 v[5:6], 0.5           ; encoding: [0xf0,0x20,0x0a,0x7e]

v_cvt_f64_f32 v[5:6], 0x3f717273
// CHECK: v_cvt_f64_f32_e32 v[5:6], 0x3f717273    ; encoding: [0xff,0x20,0x0a,0x7e,0x73,0x72,0x71,0x3f]

v_cvt_f64_f32 v[5:6], 0xaf123456
// CHECK: v_cvt_f64_f32_e32 v[5:6], 0xaf123456    ; encoding: [0xff,0x20,0x0a,0x7e,0x56,0x34,0x12,0xaf]

v_cvt_f64_f32 v[5:6], exec_hi
// CHECK: v_cvt_f64_f32_e32 v[5:6], exec_hi       ; encoding: [0x7f,0x20,0x0a,0x7e]

v_cvt_f64_f32 v[5:6], exec_lo
// CHECK: v_cvt_f64_f32_e32 v[5:6], exec_lo       ; encoding: [0x7e,0x20,0x0a,0x7e]

v_cvt_f64_f32 v[5:6], flat_scratch_hi
// CHECK: v_cvt_f64_f32_e32 v[5:6], flat_scratch_hi ; encoding: [0x69,0x20,0x0a,0x7e]

v_cvt_f64_f32 v[5:6], flat_scratch_lo
// CHECK: v_cvt_f64_f32_e32 v[5:6], flat_scratch_lo ; encoding: [0x68,0x20,0x0a,0x7e]

v_cvt_f64_f32 v[5:6], m0
// CHECK: v_cvt_f64_f32_e32 v[5:6], m0            ; encoding: [0x7c,0x20,0x0a,0x7e]

v_cvt_f64_f32 v[5:6], s1
// CHECK: v_cvt_f64_f32_e32 v[5:6], s1            ; encoding: [0x01,0x20,0x0a,0x7e]

v_cvt_f64_f32 v[5:6], s103
// CHECK: v_cvt_f64_f32_e32 v[5:6], s103          ; encoding: [0x67,0x20,0x0a,0x7e]

v_cvt_f64_f32 v[5:6], src_execz
// CHECK: v_cvt_f64_f32_e32 v[5:6], src_execz     ; encoding: [0xfc,0x20,0x0a,0x7e]

v_cvt_f64_f32 v[5:6], src_lds_direct
// CHECK: v_cvt_f64_f32_e32 v[5:6], src_lds_direct ; encoding: [0xfe,0x20,0x0a,0x7e]

v_cvt_f64_f32 v[5:6], src_scc
// CHECK: v_cvt_f64_f32_e32 v[5:6], src_scc       ; encoding: [0xfd,0x20,0x0a,0x7e]

v_cvt_f64_f32 v[5:6], src_vccz
// CHECK: v_cvt_f64_f32_e32 v[5:6], src_vccz      ; encoding: [0xfb,0x20,0x0a,0x7e]

v_cvt_f64_f32 v[5:6], tba_hi
// CHECK: v_cvt_f64_f32_e32 v[5:6], tba_hi        ; encoding: [0x6d,0x20,0x0a,0x7e]

v_cvt_f64_f32 v[5:6], tba_lo
// CHECK: v_cvt_f64_f32_e32 v[5:6], tba_lo        ; encoding: [0x6c,0x20,0x0a,0x7e]

v_cvt_f64_f32 v[5:6], tma_hi
// CHECK: v_cvt_f64_f32_e32 v[5:6], tma_hi        ; encoding: [0x6f,0x20,0x0a,0x7e]

v_cvt_f64_f32 v[5:6], tma_lo
// CHECK: v_cvt_f64_f32_e32 v[5:6], tma_lo        ; encoding: [0x6e,0x20,0x0a,0x7e]

v_cvt_f64_f32 v[5:6], ttmp11
// CHECK: v_cvt_f64_f32_e32 v[5:6], ttmp11        ; encoding: [0x7b,0x20,0x0a,0x7e]

v_cvt_f64_f32 v[5:6], v1
// CHECK: v_cvt_f64_f32_e32 v[5:6], v1            ; encoding: [0x01,0x21,0x0a,0x7e]

v_cvt_f64_f32 v[5:6], v255
// CHECK: v_cvt_f64_f32_e32 v[5:6], v255          ; encoding: [0xff,0x21,0x0a,0x7e]

v_cvt_f64_f32 v[5:6], vcc_hi
// CHECK: v_cvt_f64_f32_e32 v[5:6], vcc_hi        ; encoding: [0x6b,0x20,0x0a,0x7e]

v_cvt_f64_f32 v[5:6], vcc_lo
// CHECK: v_cvt_f64_f32_e32 v[5:6], vcc_lo        ; encoding: [0x6a,0x20,0x0a,0x7e]

v_cvt_f64_i32 v[254:255], v1
// CHECK: v_cvt_f64_i32_e32 v[254:255], v1        ; encoding: [0x01,0x09,0xfc,0x7f]

v_cvt_f64_i32 v[5:6], -1
// CHECK: v_cvt_f64_i32_e32 v[5:6], -1            ; encoding: [0xc1,0x08,0x0a,0x7e]

v_cvt_f64_i32 v[5:6], -4.0
// CHECK: v_cvt_f64_i32_e32 v[5:6], -4.0          ; encoding: [0xf7,0x08,0x0a,0x7e]

v_cvt_f64_i32 v[5:6], 0
// CHECK: v_cvt_f64_i32_e32 v[5:6], 0             ; encoding: [0x80,0x08,0x0a,0x7e]

v_cvt_f64_i32 v[5:6], 0.5
// CHECK: v_cvt_f64_i32_e32 v[5:6], 0.5           ; encoding: [0xf0,0x08,0x0a,0x7e]

v_cvt_f64_i32 v[5:6], 0x3f717273
// CHECK: v_cvt_f64_i32_e32 v[5:6], 0x3f717273    ; encoding: [0xff,0x08,0x0a,0x7e,0x73,0x72,0x71,0x3f]

v_cvt_f64_i32 v[5:6], 0xaf123456
// CHECK: v_cvt_f64_i32_e32 v[5:6], 0xaf123456    ; encoding: [0xff,0x08,0x0a,0x7e,0x56,0x34,0x12,0xaf]

v_cvt_f64_i32 v[5:6], exec_hi
// CHECK: v_cvt_f64_i32_e32 v[5:6], exec_hi       ; encoding: [0x7f,0x08,0x0a,0x7e]

v_cvt_f64_i32 v[5:6], exec_lo
// CHECK: v_cvt_f64_i32_e32 v[5:6], exec_lo       ; encoding: [0x7e,0x08,0x0a,0x7e]

v_cvt_f64_i32 v[5:6], flat_scratch_hi
// CHECK: v_cvt_f64_i32_e32 v[5:6], flat_scratch_hi ; encoding: [0x69,0x08,0x0a,0x7e]

v_cvt_f64_i32 v[5:6], flat_scratch_lo
// CHECK: v_cvt_f64_i32_e32 v[5:6], flat_scratch_lo ; encoding: [0x68,0x08,0x0a,0x7e]

v_cvt_f64_i32 v[5:6], m0
// CHECK: v_cvt_f64_i32_e32 v[5:6], m0            ; encoding: [0x7c,0x08,0x0a,0x7e]

v_cvt_f64_i32 v[5:6], s1
// CHECK: v_cvt_f64_i32_e32 v[5:6], s1            ; encoding: [0x01,0x08,0x0a,0x7e]

v_cvt_f64_i32 v[5:6], s103
// CHECK: v_cvt_f64_i32_e32 v[5:6], s103          ; encoding: [0x67,0x08,0x0a,0x7e]

v_cvt_f64_i32 v[5:6], src_execz
// CHECK: v_cvt_f64_i32_e32 v[5:6], src_execz     ; encoding: [0xfc,0x08,0x0a,0x7e]

v_cvt_f64_i32 v[5:6], src_lds_direct
// CHECK: v_cvt_f64_i32_e32 v[5:6], src_lds_direct ; encoding: [0xfe,0x08,0x0a,0x7e]

v_cvt_f64_i32 v[5:6], src_scc
// CHECK: v_cvt_f64_i32_e32 v[5:6], src_scc       ; encoding: [0xfd,0x08,0x0a,0x7e]

v_cvt_f64_i32 v[5:6], src_vccz
// CHECK: v_cvt_f64_i32_e32 v[5:6], src_vccz      ; encoding: [0xfb,0x08,0x0a,0x7e]

v_cvt_f64_i32 v[5:6], tba_hi
// CHECK: v_cvt_f64_i32_e32 v[5:6], tba_hi        ; encoding: [0x6d,0x08,0x0a,0x7e]

v_cvt_f64_i32 v[5:6], tba_lo
// CHECK: v_cvt_f64_i32_e32 v[5:6], tba_lo        ; encoding: [0x6c,0x08,0x0a,0x7e]

v_cvt_f64_i32 v[5:6], tma_hi
// CHECK: v_cvt_f64_i32_e32 v[5:6], tma_hi        ; encoding: [0x6f,0x08,0x0a,0x7e]

v_cvt_f64_i32 v[5:6], tma_lo
// CHECK: v_cvt_f64_i32_e32 v[5:6], tma_lo        ; encoding: [0x6e,0x08,0x0a,0x7e]

v_cvt_f64_i32 v[5:6], ttmp11
// CHECK: v_cvt_f64_i32_e32 v[5:6], ttmp11        ; encoding: [0x7b,0x08,0x0a,0x7e]

v_cvt_f64_i32 v[5:6], v1
// CHECK: v_cvt_f64_i32_e32 v[5:6], v1            ; encoding: [0x01,0x09,0x0a,0x7e]

v_cvt_f64_i32 v[5:6], v255
// CHECK: v_cvt_f64_i32_e32 v[5:6], v255          ; encoding: [0xff,0x09,0x0a,0x7e]

v_cvt_f64_i32 v[5:6], vcc_hi
// CHECK: v_cvt_f64_i32_e32 v[5:6], vcc_hi        ; encoding: [0x6b,0x08,0x0a,0x7e]

v_cvt_f64_i32 v[5:6], vcc_lo
// CHECK: v_cvt_f64_i32_e32 v[5:6], vcc_lo        ; encoding: [0x6a,0x08,0x0a,0x7e]

v_cvt_f64_u32 v[254:255], v1
// CHECK: v_cvt_f64_u32_e32 v[254:255], v1        ; encoding: [0x01,0x2d,0xfc,0x7f]

v_cvt_f64_u32 v[5:6], -1
// CHECK: v_cvt_f64_u32_e32 v[5:6], -1            ; encoding: [0xc1,0x2c,0x0a,0x7e]

v_cvt_f64_u32 v[5:6], -4.0
// CHECK: v_cvt_f64_u32_e32 v[5:6], -4.0          ; encoding: [0xf7,0x2c,0x0a,0x7e]

v_cvt_f64_u32 v[5:6], 0
// CHECK: v_cvt_f64_u32_e32 v[5:6], 0             ; encoding: [0x80,0x2c,0x0a,0x7e]

v_cvt_f64_u32 v[5:6], 0.5
// CHECK: v_cvt_f64_u32_e32 v[5:6], 0.5           ; encoding: [0xf0,0x2c,0x0a,0x7e]

v_cvt_f64_u32 v[5:6], 0x3f717273
// CHECK: v_cvt_f64_u32_e32 v[5:6], 0x3f717273    ; encoding: [0xff,0x2c,0x0a,0x7e,0x73,0x72,0x71,0x3f]

v_cvt_f64_u32 v[5:6], 0xaf123456
// CHECK: v_cvt_f64_u32_e32 v[5:6], 0xaf123456    ; encoding: [0xff,0x2c,0x0a,0x7e,0x56,0x34,0x12,0xaf]

v_cvt_f64_u32 v[5:6], exec_hi
// CHECK: v_cvt_f64_u32_e32 v[5:6], exec_hi       ; encoding: [0x7f,0x2c,0x0a,0x7e]

v_cvt_f64_u32 v[5:6], exec_lo
// CHECK: v_cvt_f64_u32_e32 v[5:6], exec_lo       ; encoding: [0x7e,0x2c,0x0a,0x7e]

v_cvt_f64_u32 v[5:6], flat_scratch_hi
// CHECK: v_cvt_f64_u32_e32 v[5:6], flat_scratch_hi ; encoding: [0x69,0x2c,0x0a,0x7e]

v_cvt_f64_u32 v[5:6], flat_scratch_lo
// CHECK: v_cvt_f64_u32_e32 v[5:6], flat_scratch_lo ; encoding: [0x68,0x2c,0x0a,0x7e]

v_cvt_f64_u32 v[5:6], m0
// CHECK: v_cvt_f64_u32_e32 v[5:6], m0            ; encoding: [0x7c,0x2c,0x0a,0x7e]

v_cvt_f64_u32 v[5:6], s1
// CHECK: v_cvt_f64_u32_e32 v[5:6], s1            ; encoding: [0x01,0x2c,0x0a,0x7e]

v_cvt_f64_u32 v[5:6], s103
// CHECK: v_cvt_f64_u32_e32 v[5:6], s103          ; encoding: [0x67,0x2c,0x0a,0x7e]

v_cvt_f64_u32 v[5:6], src_execz
// CHECK: v_cvt_f64_u32_e32 v[5:6], src_execz     ; encoding: [0xfc,0x2c,0x0a,0x7e]

v_cvt_f64_u32 v[5:6], src_lds_direct
// CHECK: v_cvt_f64_u32_e32 v[5:6], src_lds_direct ; encoding: [0xfe,0x2c,0x0a,0x7e]

v_cvt_f64_u32 v[5:6], src_scc
// CHECK: v_cvt_f64_u32_e32 v[5:6], src_scc       ; encoding: [0xfd,0x2c,0x0a,0x7e]

v_cvt_f64_u32 v[5:6], src_vccz
// CHECK: v_cvt_f64_u32_e32 v[5:6], src_vccz      ; encoding: [0xfb,0x2c,0x0a,0x7e]

v_cvt_f64_u32 v[5:6], tba_hi
// CHECK: v_cvt_f64_u32_e32 v[5:6], tba_hi        ; encoding: [0x6d,0x2c,0x0a,0x7e]

v_cvt_f64_u32 v[5:6], tba_lo
// CHECK: v_cvt_f64_u32_e32 v[5:6], tba_lo        ; encoding: [0x6c,0x2c,0x0a,0x7e]

v_cvt_f64_u32 v[5:6], tma_hi
// CHECK: v_cvt_f64_u32_e32 v[5:6], tma_hi        ; encoding: [0x6f,0x2c,0x0a,0x7e]

v_cvt_f64_u32 v[5:6], tma_lo
// CHECK: v_cvt_f64_u32_e32 v[5:6], tma_lo        ; encoding: [0x6e,0x2c,0x0a,0x7e]

v_cvt_f64_u32 v[5:6], ttmp11
// CHECK: v_cvt_f64_u32_e32 v[5:6], ttmp11        ; encoding: [0x7b,0x2c,0x0a,0x7e]

v_cvt_f64_u32 v[5:6], v1
// CHECK: v_cvt_f64_u32_e32 v[5:6], v1            ; encoding: [0x01,0x2d,0x0a,0x7e]

v_cvt_f64_u32 v[5:6], v255
// CHECK: v_cvt_f64_u32_e32 v[5:6], v255          ; encoding: [0xff,0x2d,0x0a,0x7e]

v_cvt_f64_u32 v[5:6], vcc_hi
// CHECK: v_cvt_f64_u32_e32 v[5:6], vcc_hi        ; encoding: [0x6b,0x2c,0x0a,0x7e]

v_cvt_f64_u32 v[5:6], vcc_lo
// CHECK: v_cvt_f64_u32_e32 v[5:6], vcc_lo        ; encoding: [0x6a,0x2c,0x0a,0x7e]

v_cvt_flr_i32_f32 v255, v1
// CHECK: v_cvt_flr_i32_f32_e32 v255, v1          ; encoding: [0x01,0x1b,0xfe,0x7f]

v_cvt_flr_i32_f32 v5, -1
// CHECK: v_cvt_flr_i32_f32_e32 v5, -1            ; encoding: [0xc1,0x1a,0x0a,0x7e]

v_cvt_flr_i32_f32 v5, -4.0
// CHECK: v_cvt_flr_i32_f32_e32 v5, -4.0          ; encoding: [0xf7,0x1a,0x0a,0x7e]

v_cvt_flr_i32_f32 v5, 0
// CHECK: v_cvt_flr_i32_f32_e32 v5, 0             ; encoding: [0x80,0x1a,0x0a,0x7e]

v_cvt_flr_i32_f32 v5, 0.5
// CHECK: v_cvt_flr_i32_f32_e32 v5, 0.5           ; encoding: [0xf0,0x1a,0x0a,0x7e]

v_cvt_flr_i32_f32 v5, 0x3f717273
// CHECK: v_cvt_flr_i32_f32_e32 v5, 0x3f717273    ; encoding: [0xff,0x1a,0x0a,0x7e,0x73,0x72,0x71,0x3f]

v_cvt_flr_i32_f32 v5, 0xaf123456
// CHECK: v_cvt_flr_i32_f32_e32 v5, 0xaf123456    ; encoding: [0xff,0x1a,0x0a,0x7e,0x56,0x34,0x12,0xaf]

v_cvt_flr_i32_f32 v5, exec_hi
// CHECK: v_cvt_flr_i32_f32_e32 v5, exec_hi       ; encoding: [0x7f,0x1a,0x0a,0x7e]

v_cvt_flr_i32_f32 v5, exec_lo
// CHECK: v_cvt_flr_i32_f32_e32 v5, exec_lo       ; encoding: [0x7e,0x1a,0x0a,0x7e]

v_cvt_flr_i32_f32 v5, flat_scratch_hi
// CHECK: v_cvt_flr_i32_f32_e32 v5, flat_scratch_hi ; encoding: [0x69,0x1a,0x0a,0x7e]

v_cvt_flr_i32_f32 v5, flat_scratch_lo
// CHECK: v_cvt_flr_i32_f32_e32 v5, flat_scratch_lo ; encoding: [0x68,0x1a,0x0a,0x7e]

v_cvt_flr_i32_f32 v5, m0
// CHECK: v_cvt_flr_i32_f32_e32 v5, m0            ; encoding: [0x7c,0x1a,0x0a,0x7e]

v_cvt_flr_i32_f32 v5, s1
// CHECK: v_cvt_flr_i32_f32_e32 v5, s1            ; encoding: [0x01,0x1a,0x0a,0x7e]

v_cvt_flr_i32_f32 v5, s103
// CHECK: v_cvt_flr_i32_f32_e32 v5, s103          ; encoding: [0x67,0x1a,0x0a,0x7e]

v_cvt_flr_i32_f32 v5, src_execz
// CHECK: v_cvt_flr_i32_f32_e32 v5, src_execz     ; encoding: [0xfc,0x1a,0x0a,0x7e]

v_cvt_flr_i32_f32 v5, src_lds_direct
// CHECK: v_cvt_flr_i32_f32_e32 v5, src_lds_direct ; encoding: [0xfe,0x1a,0x0a,0x7e]

v_cvt_flr_i32_f32 v5, src_scc
// CHECK: v_cvt_flr_i32_f32_e32 v5, src_scc       ; encoding: [0xfd,0x1a,0x0a,0x7e]

v_cvt_flr_i32_f32 v5, src_vccz
// CHECK: v_cvt_flr_i32_f32_e32 v5, src_vccz      ; encoding: [0xfb,0x1a,0x0a,0x7e]

v_cvt_flr_i32_f32 v5, tba_hi
// CHECK: v_cvt_flr_i32_f32_e32 v5, tba_hi        ; encoding: [0x6d,0x1a,0x0a,0x7e]

v_cvt_flr_i32_f32 v5, tba_lo
// CHECK: v_cvt_flr_i32_f32_e32 v5, tba_lo        ; encoding: [0x6c,0x1a,0x0a,0x7e]

v_cvt_flr_i32_f32 v5, tma_hi
// CHECK: v_cvt_flr_i32_f32_e32 v5, tma_hi        ; encoding: [0x6f,0x1a,0x0a,0x7e]

v_cvt_flr_i32_f32 v5, tma_lo
// CHECK: v_cvt_flr_i32_f32_e32 v5, tma_lo        ; encoding: [0x6e,0x1a,0x0a,0x7e]

v_cvt_flr_i32_f32 v5, ttmp11
// CHECK: v_cvt_flr_i32_f32_e32 v5, ttmp11        ; encoding: [0x7b,0x1a,0x0a,0x7e]

v_cvt_flr_i32_f32 v5, v1
// CHECK: v_cvt_flr_i32_f32_e32 v5, v1            ; encoding: [0x01,0x1b,0x0a,0x7e]

v_cvt_flr_i32_f32 v5, v255
// CHECK: v_cvt_flr_i32_f32_e32 v5, v255          ; encoding: [0xff,0x1b,0x0a,0x7e]

v_cvt_flr_i32_f32 v5, vcc_hi
// CHECK: v_cvt_flr_i32_f32_e32 v5, vcc_hi        ; encoding: [0x6b,0x1a,0x0a,0x7e]

v_cvt_flr_i32_f32 v5, vcc_lo
// CHECK: v_cvt_flr_i32_f32_e32 v5, vcc_lo        ; encoding: [0x6a,0x1a,0x0a,0x7e]

v_cvt_i32_f32 v255, v1
// CHECK: v_cvt_i32_f32_e32 v255, v1              ; encoding: [0x01,0x11,0xfe,0x7f]

v_cvt_i32_f32 v5, -1
// CHECK: v_cvt_i32_f32_e32 v5, -1                ; encoding: [0xc1,0x10,0x0a,0x7e]

v_cvt_i32_f32 v5, -4.0
// CHECK: v_cvt_i32_f32_e32 v5, -4.0              ; encoding: [0xf7,0x10,0x0a,0x7e]

v_cvt_i32_f32 v5, 0
// CHECK: v_cvt_i32_f32_e32 v5, 0                 ; encoding: [0x80,0x10,0x0a,0x7e]

v_cvt_i32_f32 v5, 0.5
// CHECK: v_cvt_i32_f32_e32 v5, 0.5               ; encoding: [0xf0,0x10,0x0a,0x7e]

v_cvt_i32_f32 v5, 0x3f717273
// CHECK: v_cvt_i32_f32_e32 v5, 0x3f717273        ; encoding: [0xff,0x10,0x0a,0x7e,0x73,0x72,0x71,0x3f]

v_cvt_i32_f32 v5, 0xaf123456
// CHECK: v_cvt_i32_f32_e32 v5, 0xaf123456        ; encoding: [0xff,0x10,0x0a,0x7e,0x56,0x34,0x12,0xaf]

v_cvt_i32_f32 v5, exec_hi
// CHECK: v_cvt_i32_f32_e32 v5, exec_hi           ; encoding: [0x7f,0x10,0x0a,0x7e]

v_cvt_i32_f32 v5, exec_lo
// CHECK: v_cvt_i32_f32_e32 v5, exec_lo           ; encoding: [0x7e,0x10,0x0a,0x7e]

v_cvt_i32_f32 v5, flat_scratch_hi
// CHECK: v_cvt_i32_f32_e32 v5, flat_scratch_hi   ; encoding: [0x69,0x10,0x0a,0x7e]

v_cvt_i32_f32 v5, flat_scratch_lo
// CHECK: v_cvt_i32_f32_e32 v5, flat_scratch_lo   ; encoding: [0x68,0x10,0x0a,0x7e]

v_cvt_i32_f32 v5, m0
// CHECK: v_cvt_i32_f32_e32 v5, m0                ; encoding: [0x7c,0x10,0x0a,0x7e]

v_cvt_i32_f32 v5, s1
// CHECK: v_cvt_i32_f32_e32 v5, s1                ; encoding: [0x01,0x10,0x0a,0x7e]

v_cvt_i32_f32 v5, s103
// CHECK: v_cvt_i32_f32_e32 v5, s103              ; encoding: [0x67,0x10,0x0a,0x7e]

v_cvt_i32_f32 v5, src_execz
// CHECK: v_cvt_i32_f32_e32 v5, src_execz         ; encoding: [0xfc,0x10,0x0a,0x7e]

v_cvt_i32_f32 v5, src_lds_direct
// CHECK: v_cvt_i32_f32_e32 v5, src_lds_direct    ; encoding: [0xfe,0x10,0x0a,0x7e]

v_cvt_i32_f32 v5, src_scc
// CHECK: v_cvt_i32_f32_e32 v5, src_scc           ; encoding: [0xfd,0x10,0x0a,0x7e]

v_cvt_i32_f32 v5, src_vccz
// CHECK: v_cvt_i32_f32_e32 v5, src_vccz          ; encoding: [0xfb,0x10,0x0a,0x7e]

v_cvt_i32_f32 v5, tba_hi
// CHECK: v_cvt_i32_f32_e32 v5, tba_hi            ; encoding: [0x6d,0x10,0x0a,0x7e]

v_cvt_i32_f32 v5, tba_lo
// CHECK: v_cvt_i32_f32_e32 v5, tba_lo            ; encoding: [0x6c,0x10,0x0a,0x7e]

v_cvt_i32_f32 v5, tma_hi
// CHECK: v_cvt_i32_f32_e32 v5, tma_hi            ; encoding: [0x6f,0x10,0x0a,0x7e]

v_cvt_i32_f32 v5, tma_lo
// CHECK: v_cvt_i32_f32_e32 v5, tma_lo            ; encoding: [0x6e,0x10,0x0a,0x7e]

v_cvt_i32_f32 v5, ttmp11
// CHECK: v_cvt_i32_f32_e32 v5, ttmp11            ; encoding: [0x7b,0x10,0x0a,0x7e]

v_cvt_i32_f32 v5, v1
// CHECK: v_cvt_i32_f32_e32 v5, v1                ; encoding: [0x01,0x11,0x0a,0x7e]

v_cvt_i32_f32 v5, v255
// CHECK: v_cvt_i32_f32_e32 v5, v255              ; encoding: [0xff,0x11,0x0a,0x7e]

v_cvt_i32_f32 v5, vcc_hi
// CHECK: v_cvt_i32_f32_e32 v5, vcc_hi            ; encoding: [0x6b,0x10,0x0a,0x7e]

v_cvt_i32_f32 v5, vcc_lo
// CHECK: v_cvt_i32_f32_e32 v5, vcc_lo            ; encoding: [0x6a,0x10,0x0a,0x7e]

v_cvt_i32_f64 v255, v[1:2]
// CHECK: v_cvt_i32_f64_e32 v255, v[1:2]          ; encoding: [0x01,0x07,0xfe,0x7f]

v_cvt_i32_f64 v5, -1
// CHECK: v_cvt_i32_f64_e32 v5, -1                ; encoding: [0xc1,0x06,0x0a,0x7e]

v_cvt_i32_f64 v5, -4.0
// CHECK: v_cvt_i32_f64_e32 v5, -4.0              ; encoding: [0xf7,0x06,0x0a,0x7e]

v_cvt_i32_f64 v5, 0
// CHECK: v_cvt_i32_f64_e32 v5, 0                 ; encoding: [0x80,0x06,0x0a,0x7e]

v_cvt_i32_f64 v5, 0.5
// CHECK: v_cvt_i32_f64_e32 v5, 0.5               ; encoding: [0xf0,0x06,0x0a,0x7e]

v_cvt_i32_f64 v5, 0x3f717273
// CHECK: v_cvt_i32_f64_e32 v5, 0x3f717273        ; encoding: [0xff,0x06,0x0a,0x7e,0x73,0x72,0x71,0x3f]

v_cvt_i32_f64 v5, 0xaf123456
// CHECK: v_cvt_i32_f64_e32 v5, 0xaf123456        ; encoding: [0xff,0x06,0x0a,0x7e,0x56,0x34,0x12,0xaf]

v_cvt_i32_f64 v5, exec
// CHECK: v_cvt_i32_f64_e32 v5, exec              ; encoding: [0x7e,0x06,0x0a,0x7e]

v_cvt_i32_f64 v5, flat_scratch
// CHECK: v_cvt_i32_f64_e32 v5, flat_scratch      ; encoding: [0x68,0x06,0x0a,0x7e]

v_cvt_i32_f64 v5, s[102:103]
// CHECK: v_cvt_i32_f64_e32 v5, s[102:103]        ; encoding: [0x66,0x06,0x0a,0x7e]

v_cvt_i32_f64 v5, s[2:3]
// CHECK: v_cvt_i32_f64_e32 v5, s[2:3]            ; encoding: [0x02,0x06,0x0a,0x7e]

v_cvt_i32_f64 v5, s[4:5]
// CHECK: v_cvt_i32_f64_e32 v5, s[4:5]            ; encoding: [0x04,0x06,0x0a,0x7e]

v_cvt_i32_f64 v5, src_execz
// CHECK: v_cvt_i32_f64_e32 v5, src_execz         ; encoding: [0xfc,0x06,0x0a,0x7e]

v_cvt_i32_f64 v5, src_scc
// CHECK: v_cvt_i32_f64_e32 v5, src_scc           ; encoding: [0xfd,0x06,0x0a,0x7e]

v_cvt_i32_f64 v5, src_vccz
// CHECK: v_cvt_i32_f64_e32 v5, src_vccz          ; encoding: [0xfb,0x06,0x0a,0x7e]

v_cvt_i32_f64 v5, tba
// CHECK: v_cvt_i32_f64_e32 v5, tba               ; encoding: [0x6c,0x06,0x0a,0x7e]

v_cvt_i32_f64 v5, tma
// CHECK: v_cvt_i32_f64_e32 v5, tma               ; encoding: [0x6e,0x06,0x0a,0x7e]

v_cvt_i32_f64 v5, ttmp[10:11]
// CHECK: v_cvt_i32_f64_e32 v5, ttmp[10:11]       ; encoding: [0x7a,0x06,0x0a,0x7e]

v_cvt_i32_f64 v5, v[1:2]
// CHECK: v_cvt_i32_f64_e32 v5, v[1:2]            ; encoding: [0x01,0x07,0x0a,0x7e]

v_cvt_i32_f64 v5, v[254:255]
// CHECK: v_cvt_i32_f64_e32 v5, v[254:255]        ; encoding: [0xfe,0x07,0x0a,0x7e]

v_cvt_i32_f64 v5, vcc
// CHECK: v_cvt_i32_f64_e32 v5, vcc               ; encoding: [0x6a,0x06,0x0a,0x7e]

v_cvt_off_f32_i4 v255, v1
// CHECK: v_cvt_off_f32_i4_e32 v255, v1           ; encoding: [0x01,0x1d,0xfe,0x7f]

v_cvt_off_f32_i4 v5, -1
// CHECK: v_cvt_off_f32_i4_e32 v5, -1             ; encoding: [0xc1,0x1c,0x0a,0x7e]

v_cvt_off_f32_i4 v5, -4.0
// CHECK: v_cvt_off_f32_i4_e32 v5, -4.0           ; encoding: [0xf7,0x1c,0x0a,0x7e]

v_cvt_off_f32_i4 v5, 0
// CHECK: v_cvt_off_f32_i4_e32 v5, 0              ; encoding: [0x80,0x1c,0x0a,0x7e]

v_cvt_off_f32_i4 v5, 0.5
// CHECK: v_cvt_off_f32_i4_e32 v5, 0.5            ; encoding: [0xf0,0x1c,0x0a,0x7e]

v_cvt_off_f32_i4 v5, 0x41
// CHECK: v_cvt_off_f32_i4_e32 v5, 0x41           ; encoding: [0xff,0x1c,0x0a,0x7e,0x41,0x00,0x00,0x00]

v_cvt_off_f32_i4 v5, 0x4f
// CHECK: v_cvt_off_f32_i4_e32 v5, 0x4f           ; encoding: [0xff,0x1c,0x0a,0x7e,0x4f,0x00,0x00,0x00]

v_cvt_off_f32_i4 v5, exec_hi
// CHECK: v_cvt_off_f32_i4_e32 v5, exec_hi        ; encoding: [0x7f,0x1c,0x0a,0x7e]

v_cvt_off_f32_i4 v5, exec_lo
// CHECK: v_cvt_off_f32_i4_e32 v5, exec_lo        ; encoding: [0x7e,0x1c,0x0a,0x7e]

v_cvt_off_f32_i4 v5, flat_scratch_hi
// CHECK: v_cvt_off_f32_i4_e32 v5, flat_scratch_hi ; encoding: [0x69,0x1c,0x0a,0x7e]

v_cvt_off_f32_i4 v5, flat_scratch_lo
// CHECK: v_cvt_off_f32_i4_e32 v5, flat_scratch_lo ; encoding: [0x68,0x1c,0x0a,0x7e]

v_cvt_off_f32_i4 v5, m0
// CHECK: v_cvt_off_f32_i4_e32 v5, m0             ; encoding: [0x7c,0x1c,0x0a,0x7e]

v_cvt_off_f32_i4 v5, s1
// CHECK: v_cvt_off_f32_i4_e32 v5, s1             ; encoding: [0x01,0x1c,0x0a,0x7e]

v_cvt_off_f32_i4 v5, s103
// CHECK: v_cvt_off_f32_i4_e32 v5, s103           ; encoding: [0x67,0x1c,0x0a,0x7e]

v_cvt_off_f32_i4 v5, src_execz
// CHECK: v_cvt_off_f32_i4_e32 v5, src_execz      ; encoding: [0xfc,0x1c,0x0a,0x7e]

v_cvt_off_f32_i4 v5, src_lds_direct
// CHECK: v_cvt_off_f32_i4_e32 v5, src_lds_direct ; encoding: [0xfe,0x1c,0x0a,0x7e]

v_cvt_off_f32_i4 v5, src_scc
// CHECK: v_cvt_off_f32_i4_e32 v5, src_scc        ; encoding: [0xfd,0x1c,0x0a,0x7e]

v_cvt_off_f32_i4 v5, src_vccz
// CHECK: v_cvt_off_f32_i4_e32 v5, src_vccz       ; encoding: [0xfb,0x1c,0x0a,0x7e]

v_cvt_off_f32_i4 v5, tba_hi
// CHECK: v_cvt_off_f32_i4_e32 v5, tba_hi         ; encoding: [0x6d,0x1c,0x0a,0x7e]

v_cvt_off_f32_i4 v5, tba_lo
// CHECK: v_cvt_off_f32_i4_e32 v5, tba_lo         ; encoding: [0x6c,0x1c,0x0a,0x7e]

v_cvt_off_f32_i4 v5, tma_hi
// CHECK: v_cvt_off_f32_i4_e32 v5, tma_hi         ; encoding: [0x6f,0x1c,0x0a,0x7e]

v_cvt_off_f32_i4 v5, tma_lo
// CHECK: v_cvt_off_f32_i4_e32 v5, tma_lo         ; encoding: [0x6e,0x1c,0x0a,0x7e]

v_cvt_off_f32_i4 v5, ttmp11
// CHECK: v_cvt_off_f32_i4_e32 v5, ttmp11         ; encoding: [0x7b,0x1c,0x0a,0x7e]

v_cvt_off_f32_i4 v5, v1
// CHECK: v_cvt_off_f32_i4_e32 v5, v1             ; encoding: [0x01,0x1d,0x0a,0x7e]

v_cvt_off_f32_i4 v5, v255
// CHECK: v_cvt_off_f32_i4_e32 v5, v255           ; encoding: [0xff,0x1d,0x0a,0x7e]

v_cvt_off_f32_i4 v5, vcc_hi
// CHECK: v_cvt_off_f32_i4_e32 v5, vcc_hi         ; encoding: [0x6b,0x1c,0x0a,0x7e]

v_cvt_off_f32_i4 v5, vcc_lo
// CHECK: v_cvt_off_f32_i4_e32 v5, vcc_lo         ; encoding: [0x6a,0x1c,0x0a,0x7e]

v_cvt_rpi_i32_f32 v255, v1
// CHECK: v_cvt_rpi_i32_f32_e32 v255, v1          ; encoding: [0x01,0x19,0xfe,0x7f]

v_cvt_rpi_i32_f32 v5, -1
// CHECK: v_cvt_rpi_i32_f32_e32 v5, -1            ; encoding: [0xc1,0x18,0x0a,0x7e]

v_cvt_rpi_i32_f32 v5, -4.0
// CHECK: v_cvt_rpi_i32_f32_e32 v5, -4.0          ; encoding: [0xf7,0x18,0x0a,0x7e]

v_cvt_rpi_i32_f32 v5, 0
// CHECK: v_cvt_rpi_i32_f32_e32 v5, 0             ; encoding: [0x80,0x18,0x0a,0x7e]

v_cvt_rpi_i32_f32 v5, 0.5
// CHECK: v_cvt_rpi_i32_f32_e32 v5, 0.5           ; encoding: [0xf0,0x18,0x0a,0x7e]

v_cvt_rpi_i32_f32 v5, 0x3f717273
// CHECK: v_cvt_rpi_i32_f32_e32 v5, 0x3f717273    ; encoding: [0xff,0x18,0x0a,0x7e,0x73,0x72,0x71,0x3f]

v_cvt_rpi_i32_f32 v5, 0xaf123456
// CHECK: v_cvt_rpi_i32_f32_e32 v5, 0xaf123456    ; encoding: [0xff,0x18,0x0a,0x7e,0x56,0x34,0x12,0xaf]

v_cvt_rpi_i32_f32 v5, exec_hi
// CHECK: v_cvt_rpi_i32_f32_e32 v5, exec_hi       ; encoding: [0x7f,0x18,0x0a,0x7e]

v_cvt_rpi_i32_f32 v5, exec_lo
// CHECK: v_cvt_rpi_i32_f32_e32 v5, exec_lo       ; encoding: [0x7e,0x18,0x0a,0x7e]

v_cvt_rpi_i32_f32 v5, flat_scratch_hi
// CHECK: v_cvt_rpi_i32_f32_e32 v5, flat_scratch_hi ; encoding: [0x69,0x18,0x0a,0x7e]

v_cvt_rpi_i32_f32 v5, flat_scratch_lo
// CHECK: v_cvt_rpi_i32_f32_e32 v5, flat_scratch_lo ; encoding: [0x68,0x18,0x0a,0x7e]

v_cvt_rpi_i32_f32 v5, m0
// CHECK: v_cvt_rpi_i32_f32_e32 v5, m0            ; encoding: [0x7c,0x18,0x0a,0x7e]

v_cvt_rpi_i32_f32 v5, s1
// CHECK: v_cvt_rpi_i32_f32_e32 v5, s1            ; encoding: [0x01,0x18,0x0a,0x7e]

v_cvt_rpi_i32_f32 v5, s103
// CHECK: v_cvt_rpi_i32_f32_e32 v5, s103          ; encoding: [0x67,0x18,0x0a,0x7e]

v_cvt_rpi_i32_f32 v5, src_execz
// CHECK: v_cvt_rpi_i32_f32_e32 v5, src_execz     ; encoding: [0xfc,0x18,0x0a,0x7e]

v_cvt_rpi_i32_f32 v5, src_lds_direct
// CHECK: v_cvt_rpi_i32_f32_e32 v5, src_lds_direct ; encoding: [0xfe,0x18,0x0a,0x7e]

v_cvt_rpi_i32_f32 v5, src_scc
// CHECK: v_cvt_rpi_i32_f32_e32 v5, src_scc       ; encoding: [0xfd,0x18,0x0a,0x7e]

v_cvt_rpi_i32_f32 v5, src_vccz
// CHECK: v_cvt_rpi_i32_f32_e32 v5, src_vccz      ; encoding: [0xfb,0x18,0x0a,0x7e]

v_cvt_rpi_i32_f32 v5, tba_hi
// CHECK: v_cvt_rpi_i32_f32_e32 v5, tba_hi        ; encoding: [0x6d,0x18,0x0a,0x7e]

v_cvt_rpi_i32_f32 v5, tba_lo
// CHECK: v_cvt_rpi_i32_f32_e32 v5, tba_lo        ; encoding: [0x6c,0x18,0x0a,0x7e]

v_cvt_rpi_i32_f32 v5, tma_hi
// CHECK: v_cvt_rpi_i32_f32_e32 v5, tma_hi        ; encoding: [0x6f,0x18,0x0a,0x7e]

v_cvt_rpi_i32_f32 v5, tma_lo
// CHECK: v_cvt_rpi_i32_f32_e32 v5, tma_lo        ; encoding: [0x6e,0x18,0x0a,0x7e]

v_cvt_rpi_i32_f32 v5, ttmp11
// CHECK: v_cvt_rpi_i32_f32_e32 v5, ttmp11        ; encoding: [0x7b,0x18,0x0a,0x7e]

v_cvt_rpi_i32_f32 v5, v1
// CHECK: v_cvt_rpi_i32_f32_e32 v5, v1            ; encoding: [0x01,0x19,0x0a,0x7e]

v_cvt_rpi_i32_f32 v5, v255
// CHECK: v_cvt_rpi_i32_f32_e32 v5, v255          ; encoding: [0xff,0x19,0x0a,0x7e]

v_cvt_rpi_i32_f32 v5, vcc_hi
// CHECK: v_cvt_rpi_i32_f32_e32 v5, vcc_hi        ; encoding: [0x6b,0x18,0x0a,0x7e]

v_cvt_rpi_i32_f32 v5, vcc_lo
// CHECK: v_cvt_rpi_i32_f32_e32 v5, vcc_lo        ; encoding: [0x6a,0x18,0x0a,0x7e]

v_cvt_u32_f32 v255, v1
// CHECK: v_cvt_u32_f32_e32 v255, v1              ; encoding: [0x01,0x0f,0xfe,0x7f]

v_cvt_u32_f32 v5, -1
// CHECK: v_cvt_u32_f32_e32 v5, -1                ; encoding: [0xc1,0x0e,0x0a,0x7e]

v_cvt_u32_f32 v5, -4.0
// CHECK: v_cvt_u32_f32_e32 v5, -4.0              ; encoding: [0xf7,0x0e,0x0a,0x7e]

v_cvt_u32_f32 v5, 0
// CHECK: v_cvt_u32_f32_e32 v5, 0                 ; encoding: [0x80,0x0e,0x0a,0x7e]

v_cvt_u32_f32 v5, 0.5
// CHECK: v_cvt_u32_f32_e32 v5, 0.5               ; encoding: [0xf0,0x0e,0x0a,0x7e]

v_cvt_u32_f32 v5, 0x3f717273
// CHECK: v_cvt_u32_f32_e32 v5, 0x3f717273        ; encoding: [0xff,0x0e,0x0a,0x7e,0x73,0x72,0x71,0x3f]

v_cvt_u32_f32 v5, 0xaf123456
// CHECK: v_cvt_u32_f32_e32 v5, 0xaf123456        ; encoding: [0xff,0x0e,0x0a,0x7e,0x56,0x34,0x12,0xaf]

v_cvt_u32_f32 v5, exec_hi
// CHECK: v_cvt_u32_f32_e32 v5, exec_hi           ; encoding: [0x7f,0x0e,0x0a,0x7e]

v_cvt_u32_f32 v5, exec_lo
// CHECK: v_cvt_u32_f32_e32 v5, exec_lo           ; encoding: [0x7e,0x0e,0x0a,0x7e]

v_cvt_u32_f32 v5, flat_scratch_hi
// CHECK: v_cvt_u32_f32_e32 v5, flat_scratch_hi   ; encoding: [0x69,0x0e,0x0a,0x7e]

v_cvt_u32_f32 v5, flat_scratch_lo
// CHECK: v_cvt_u32_f32_e32 v5, flat_scratch_lo   ; encoding: [0x68,0x0e,0x0a,0x7e]

v_cvt_u32_f32 v5, m0
// CHECK: v_cvt_u32_f32_e32 v5, m0                ; encoding: [0x7c,0x0e,0x0a,0x7e]

v_cvt_u32_f32 v5, s1
// CHECK: v_cvt_u32_f32_e32 v5, s1                ; encoding: [0x01,0x0e,0x0a,0x7e]

v_cvt_u32_f32 v5, s103
// CHECK: v_cvt_u32_f32_e32 v5, s103              ; encoding: [0x67,0x0e,0x0a,0x7e]

v_cvt_u32_f32 v5, src_execz
// CHECK: v_cvt_u32_f32_e32 v5, src_execz         ; encoding: [0xfc,0x0e,0x0a,0x7e]

v_cvt_u32_f32 v5, src_lds_direct
// CHECK: v_cvt_u32_f32_e32 v5, src_lds_direct    ; encoding: [0xfe,0x0e,0x0a,0x7e]

v_cvt_u32_f32 v5, src_scc
// CHECK: v_cvt_u32_f32_e32 v5, src_scc           ; encoding: [0xfd,0x0e,0x0a,0x7e]

v_cvt_u32_f32 v5, src_vccz
// CHECK: v_cvt_u32_f32_e32 v5, src_vccz          ; encoding: [0xfb,0x0e,0x0a,0x7e]

v_cvt_u32_f32 v5, tba_hi
// CHECK: v_cvt_u32_f32_e32 v5, tba_hi            ; encoding: [0x6d,0x0e,0x0a,0x7e]

v_cvt_u32_f32 v5, tba_lo
// CHECK: v_cvt_u32_f32_e32 v5, tba_lo            ; encoding: [0x6c,0x0e,0x0a,0x7e]

v_cvt_u32_f32 v5, tma_hi
// CHECK: v_cvt_u32_f32_e32 v5, tma_hi            ; encoding: [0x6f,0x0e,0x0a,0x7e]

v_cvt_u32_f32 v5, tma_lo
// CHECK: v_cvt_u32_f32_e32 v5, tma_lo            ; encoding: [0x6e,0x0e,0x0a,0x7e]

v_cvt_u32_f32 v5, ttmp11
// CHECK: v_cvt_u32_f32_e32 v5, ttmp11            ; encoding: [0x7b,0x0e,0x0a,0x7e]

v_cvt_u32_f32 v5, v1
// CHECK: v_cvt_u32_f32_e32 v5, v1                ; encoding: [0x01,0x0f,0x0a,0x7e]

v_cvt_u32_f32 v5, v255
// CHECK: v_cvt_u32_f32_e32 v5, v255              ; encoding: [0xff,0x0f,0x0a,0x7e]

v_cvt_u32_f32 v5, vcc_hi
// CHECK: v_cvt_u32_f32_e32 v5, vcc_hi            ; encoding: [0x6b,0x0e,0x0a,0x7e]

v_cvt_u32_f32 v5, vcc_lo
// CHECK: v_cvt_u32_f32_e32 v5, vcc_lo            ; encoding: [0x6a,0x0e,0x0a,0x7e]

v_cvt_u32_f64 v255, v[1:2]
// CHECK: v_cvt_u32_f64_e32 v255, v[1:2]          ; encoding: [0x01,0x2b,0xfe,0x7f]

v_cvt_u32_f64 v5, -1
// CHECK: v_cvt_u32_f64_e32 v5, -1                ; encoding: [0xc1,0x2a,0x0a,0x7e]

v_cvt_u32_f64 v5, -4.0
// CHECK: v_cvt_u32_f64_e32 v5, -4.0              ; encoding: [0xf7,0x2a,0x0a,0x7e]

v_cvt_u32_f64 v5, 0
// CHECK: v_cvt_u32_f64_e32 v5, 0                 ; encoding: [0x80,0x2a,0x0a,0x7e]

v_cvt_u32_f64 v5, 0.5
// CHECK: v_cvt_u32_f64_e32 v5, 0.5               ; encoding: [0xf0,0x2a,0x0a,0x7e]

v_cvt_u32_f64 v5, 0x3f717273
// CHECK: v_cvt_u32_f64_e32 v5, 0x3f717273        ; encoding: [0xff,0x2a,0x0a,0x7e,0x73,0x72,0x71,0x3f]

v_cvt_u32_f64 v5, 0xaf123456
// CHECK: v_cvt_u32_f64_e32 v5, 0xaf123456        ; encoding: [0xff,0x2a,0x0a,0x7e,0x56,0x34,0x12,0xaf]

v_cvt_u32_f64 v5, exec
// CHECK: v_cvt_u32_f64_e32 v5, exec              ; encoding: [0x7e,0x2a,0x0a,0x7e]

v_cvt_u32_f64 v5, flat_scratch
// CHECK: v_cvt_u32_f64_e32 v5, flat_scratch      ; encoding: [0x68,0x2a,0x0a,0x7e]

v_cvt_u32_f64 v5, s[102:103]
// CHECK: v_cvt_u32_f64_e32 v5, s[102:103]        ; encoding: [0x66,0x2a,0x0a,0x7e]

v_cvt_u32_f64 v5, s[2:3]
// CHECK: v_cvt_u32_f64_e32 v5, s[2:3]            ; encoding: [0x02,0x2a,0x0a,0x7e]

v_cvt_u32_f64 v5, s[4:5]
// CHECK: v_cvt_u32_f64_e32 v5, s[4:5]            ; encoding: [0x04,0x2a,0x0a,0x7e]

v_cvt_u32_f64 v5, src_execz
// CHECK: v_cvt_u32_f64_e32 v5, src_execz         ; encoding: [0xfc,0x2a,0x0a,0x7e]

v_cvt_u32_f64 v5, src_scc
// CHECK: v_cvt_u32_f64_e32 v5, src_scc           ; encoding: [0xfd,0x2a,0x0a,0x7e]

v_cvt_u32_f64 v5, src_vccz
// CHECK: v_cvt_u32_f64_e32 v5, src_vccz          ; encoding: [0xfb,0x2a,0x0a,0x7e]

v_cvt_u32_f64 v5, tba
// CHECK: v_cvt_u32_f64_e32 v5, tba               ; encoding: [0x6c,0x2a,0x0a,0x7e]

v_cvt_u32_f64 v5, tma
// CHECK: v_cvt_u32_f64_e32 v5, tma               ; encoding: [0x6e,0x2a,0x0a,0x7e]

v_cvt_u32_f64 v5, ttmp[10:11]
// CHECK: v_cvt_u32_f64_e32 v5, ttmp[10:11]       ; encoding: [0x7a,0x2a,0x0a,0x7e]

v_cvt_u32_f64 v5, v[1:2]
// CHECK: v_cvt_u32_f64_e32 v5, v[1:2]            ; encoding: [0x01,0x2b,0x0a,0x7e]

v_cvt_u32_f64 v5, v[254:255]
// CHECK: v_cvt_u32_f64_e32 v5, v[254:255]        ; encoding: [0xfe,0x2b,0x0a,0x7e]

v_cvt_u32_f64 v5, vcc
// CHECK: v_cvt_u32_f64_e32 v5, vcc               ; encoding: [0x6a,0x2a,0x0a,0x7e]

v_exp_f32 v255, v1
// CHECK: v_exp_f32_e32 v255, v1                  ; encoding: [0x01,0x4b,0xfe,0x7f]

v_exp_f32 v5, -1
// CHECK: v_exp_f32_e32 v5, -1                    ; encoding: [0xc1,0x4a,0x0a,0x7e]

v_exp_f32 v5, -4.0
// CHECK: v_exp_f32_e32 v5, -4.0                  ; encoding: [0xf7,0x4a,0x0a,0x7e]

v_exp_f32 v5, 0
// CHECK: v_exp_f32_e32 v5, 0                     ; encoding: [0x80,0x4a,0x0a,0x7e]

v_exp_f32 v5, 0.5
// CHECK: v_exp_f32_e32 v5, 0.5                   ; encoding: [0xf0,0x4a,0x0a,0x7e]

v_exp_f32 v5, 0x3f717273
// CHECK: v_exp_f32_e32 v5, 0x3f717273            ; encoding: [0xff,0x4a,0x0a,0x7e,0x73,0x72,0x71,0x3f]

v_exp_f32 v5, 0xaf123456
// CHECK: v_exp_f32_e32 v5, 0xaf123456            ; encoding: [0xff,0x4a,0x0a,0x7e,0x56,0x34,0x12,0xaf]

v_exp_f32 v5, exec_hi
// CHECK: v_exp_f32_e32 v5, exec_hi               ; encoding: [0x7f,0x4a,0x0a,0x7e]

v_exp_f32 v5, exec_lo
// CHECK: v_exp_f32_e32 v5, exec_lo               ; encoding: [0x7e,0x4a,0x0a,0x7e]

v_exp_f32 v5, flat_scratch_hi
// CHECK: v_exp_f32_e32 v5, flat_scratch_hi       ; encoding: [0x69,0x4a,0x0a,0x7e]

v_exp_f32 v5, flat_scratch_lo
// CHECK: v_exp_f32_e32 v5, flat_scratch_lo       ; encoding: [0x68,0x4a,0x0a,0x7e]

v_exp_f32 v5, m0
// CHECK: v_exp_f32_e32 v5, m0                    ; encoding: [0x7c,0x4a,0x0a,0x7e]

v_exp_f32 v5, s1
// CHECK: v_exp_f32_e32 v5, s1                    ; encoding: [0x01,0x4a,0x0a,0x7e]

v_exp_f32 v5, s103
// CHECK: v_exp_f32_e32 v5, s103                  ; encoding: [0x67,0x4a,0x0a,0x7e]

v_exp_f32 v5, src_execz
// CHECK: v_exp_f32_e32 v5, src_execz             ; encoding: [0xfc,0x4a,0x0a,0x7e]

v_exp_f32 v5, src_lds_direct
// CHECK: v_exp_f32_e32 v5, src_lds_direct        ; encoding: [0xfe,0x4a,0x0a,0x7e]

v_exp_f32 v5, src_scc
// CHECK: v_exp_f32_e32 v5, src_scc               ; encoding: [0xfd,0x4a,0x0a,0x7e]

v_exp_f32 v5, src_vccz
// CHECK: v_exp_f32_e32 v5, src_vccz              ; encoding: [0xfb,0x4a,0x0a,0x7e]

v_exp_f32 v5, tba_hi
// CHECK: v_exp_f32_e32 v5, tba_hi                ; encoding: [0x6d,0x4a,0x0a,0x7e]

v_exp_f32 v5, tba_lo
// CHECK: v_exp_f32_e32 v5, tba_lo                ; encoding: [0x6c,0x4a,0x0a,0x7e]

v_exp_f32 v5, tma_hi
// CHECK: v_exp_f32_e32 v5, tma_hi                ; encoding: [0x6f,0x4a,0x0a,0x7e]

v_exp_f32 v5, tma_lo
// CHECK: v_exp_f32_e32 v5, tma_lo                ; encoding: [0x6e,0x4a,0x0a,0x7e]

v_exp_f32 v5, ttmp11
// CHECK: v_exp_f32_e32 v5, ttmp11                ; encoding: [0x7b,0x4a,0x0a,0x7e]

v_exp_f32 v5, v1
// CHECK: v_exp_f32_e32 v5, v1                    ; encoding: [0x01,0x4b,0x0a,0x7e]

v_exp_f32 v5, v255
// CHECK: v_exp_f32_e32 v5, v255                  ; encoding: [0xff,0x4b,0x0a,0x7e]

v_exp_f32 v5, vcc_hi
// CHECK: v_exp_f32_e32 v5, vcc_hi                ; encoding: [0x6b,0x4a,0x0a,0x7e]

v_exp_f32 v5, vcc_lo
// CHECK: v_exp_f32_e32 v5, vcc_lo                ; encoding: [0x6a,0x4a,0x0a,0x7e]

v_exp_legacy_f32 v255, v1
// CHECK: v_exp_legacy_f32_e32 v255, v1           ; encoding: [0x01,0x8d,0xfe,0x7f]

v_exp_legacy_f32 v5, -1
// CHECK: v_exp_legacy_f32_e32 v5, -1             ; encoding: [0xc1,0x8c,0x0a,0x7e]

v_exp_legacy_f32 v5, -4.0
// CHECK: v_exp_legacy_f32_e32 v5, -4.0           ; encoding: [0xf7,0x8c,0x0a,0x7e]

v_exp_legacy_f32 v5, 0
// CHECK: v_exp_legacy_f32_e32 v5, 0              ; encoding: [0x80,0x8c,0x0a,0x7e]

v_exp_legacy_f32 v5, 0.5
// CHECK: v_exp_legacy_f32_e32 v5, 0.5            ; encoding: [0xf0,0x8c,0x0a,0x7e]

v_exp_legacy_f32 v5, 0x3f717273
// CHECK: v_exp_legacy_f32_e32 v5, 0x3f717273     ; encoding: [0xff,0x8c,0x0a,0x7e,0x73,0x72,0x71,0x3f]

v_exp_legacy_f32 v5, 0xaf123456
// CHECK: v_exp_legacy_f32_e32 v5, 0xaf123456     ; encoding: [0xff,0x8c,0x0a,0x7e,0x56,0x34,0x12,0xaf]

v_exp_legacy_f32 v5, exec_hi
// CHECK: v_exp_legacy_f32_e32 v5, exec_hi        ; encoding: [0x7f,0x8c,0x0a,0x7e]

v_exp_legacy_f32 v5, exec_lo
// CHECK: v_exp_legacy_f32_e32 v5, exec_lo        ; encoding: [0x7e,0x8c,0x0a,0x7e]

v_exp_legacy_f32 v5, flat_scratch_hi
// CHECK: v_exp_legacy_f32_e32 v5, flat_scratch_hi ; encoding: [0x69,0x8c,0x0a,0x7e]

v_exp_legacy_f32 v5, flat_scratch_lo
// CHECK: v_exp_legacy_f32_e32 v5, flat_scratch_lo ; encoding: [0x68,0x8c,0x0a,0x7e]

v_exp_legacy_f32 v5, m0
// CHECK: v_exp_legacy_f32_e32 v5, m0             ; encoding: [0x7c,0x8c,0x0a,0x7e]

v_exp_legacy_f32 v5, s1
// CHECK: v_exp_legacy_f32_e32 v5, s1             ; encoding: [0x01,0x8c,0x0a,0x7e]

v_exp_legacy_f32 v5, s103
// CHECK: v_exp_legacy_f32_e32 v5, s103           ; encoding: [0x67,0x8c,0x0a,0x7e]

v_exp_legacy_f32 v5, src_execz
// CHECK: v_exp_legacy_f32_e32 v5, src_execz      ; encoding: [0xfc,0x8c,0x0a,0x7e]

v_exp_legacy_f32 v5, src_lds_direct
// CHECK: v_exp_legacy_f32_e32 v5, src_lds_direct ; encoding: [0xfe,0x8c,0x0a,0x7e]

v_exp_legacy_f32 v5, src_scc
// CHECK: v_exp_legacy_f32_e32 v5, src_scc        ; encoding: [0xfd,0x8c,0x0a,0x7e]

v_exp_legacy_f32 v5, src_vccz
// CHECK: v_exp_legacy_f32_e32 v5, src_vccz       ; encoding: [0xfb,0x8c,0x0a,0x7e]

v_exp_legacy_f32 v5, tba_hi
// CHECK: v_exp_legacy_f32_e32 v5, tba_hi         ; encoding: [0x6d,0x8c,0x0a,0x7e]

v_exp_legacy_f32 v5, tba_lo
// CHECK: v_exp_legacy_f32_e32 v5, tba_lo         ; encoding: [0x6c,0x8c,0x0a,0x7e]

v_exp_legacy_f32 v5, tma_hi
// CHECK: v_exp_legacy_f32_e32 v5, tma_hi         ; encoding: [0x6f,0x8c,0x0a,0x7e]

v_exp_legacy_f32 v5, tma_lo
// CHECK: v_exp_legacy_f32_e32 v5, tma_lo         ; encoding: [0x6e,0x8c,0x0a,0x7e]

v_exp_legacy_f32 v5, ttmp11
// CHECK: v_exp_legacy_f32_e32 v5, ttmp11         ; encoding: [0x7b,0x8c,0x0a,0x7e]

v_exp_legacy_f32 v5, v1
// CHECK: v_exp_legacy_f32_e32 v5, v1             ; encoding: [0x01,0x8d,0x0a,0x7e]

v_exp_legacy_f32 v5, v255
// CHECK: v_exp_legacy_f32_e32 v5, v255           ; encoding: [0xff,0x8d,0x0a,0x7e]

v_exp_legacy_f32 v5, vcc_hi
// CHECK: v_exp_legacy_f32_e32 v5, vcc_hi         ; encoding: [0x6b,0x8c,0x0a,0x7e]

v_exp_legacy_f32 v5, vcc_lo
// CHECK: v_exp_legacy_f32_e32 v5, vcc_lo         ; encoding: [0x6a,0x8c,0x0a,0x7e]

v_ffbh_i32 v255, v1
// CHECK: v_ffbh_i32_e32 v255, v1                 ; encoding: [0x01,0x77,0xfe,0x7f]

v_ffbh_i32 v5, -1
// CHECK: v_ffbh_i32_e32 v5, -1                   ; encoding: [0xc1,0x76,0x0a,0x7e]

v_ffbh_i32 v5, -4.0
// CHECK: v_ffbh_i32_e32 v5, -4.0                 ; encoding: [0xf7,0x76,0x0a,0x7e]

v_ffbh_i32 v5, 0
// CHECK: v_ffbh_i32_e32 v5, 0                    ; encoding: [0x80,0x76,0x0a,0x7e]

v_ffbh_i32 v5, 0.5
// CHECK: v_ffbh_i32_e32 v5, 0.5                  ; encoding: [0xf0,0x76,0x0a,0x7e]

v_ffbh_i32 v5, 0x3f717273
// CHECK: v_ffbh_i32_e32 v5, 0x3f717273           ; encoding: [0xff,0x76,0x0a,0x7e,0x73,0x72,0x71,0x3f]

v_ffbh_i32 v5, 0xaf123456
// CHECK: v_ffbh_i32_e32 v5, 0xaf123456           ; encoding: [0xff,0x76,0x0a,0x7e,0x56,0x34,0x12,0xaf]

v_ffbh_i32 v5, exec_hi
// CHECK: v_ffbh_i32_e32 v5, exec_hi              ; encoding: [0x7f,0x76,0x0a,0x7e]

v_ffbh_i32 v5, exec_lo
// CHECK: v_ffbh_i32_e32 v5, exec_lo              ; encoding: [0x7e,0x76,0x0a,0x7e]

v_ffbh_i32 v5, flat_scratch_hi
// CHECK: v_ffbh_i32_e32 v5, flat_scratch_hi      ; encoding: [0x69,0x76,0x0a,0x7e]

v_ffbh_i32 v5, flat_scratch_lo
// CHECK: v_ffbh_i32_e32 v5, flat_scratch_lo      ; encoding: [0x68,0x76,0x0a,0x7e]

v_ffbh_i32 v5, m0
// CHECK: v_ffbh_i32_e32 v5, m0                   ; encoding: [0x7c,0x76,0x0a,0x7e]

v_ffbh_i32 v5, s1
// CHECK: v_ffbh_i32_e32 v5, s1                   ; encoding: [0x01,0x76,0x0a,0x7e]

v_ffbh_i32 v5, s103
// CHECK: v_ffbh_i32_e32 v5, s103                 ; encoding: [0x67,0x76,0x0a,0x7e]

v_ffbh_i32 v5, src_execz
// CHECK: v_ffbh_i32_e32 v5, src_execz            ; encoding: [0xfc,0x76,0x0a,0x7e]

v_ffbh_i32 v5, src_lds_direct
// CHECK: v_ffbh_i32_e32 v5, src_lds_direct       ; encoding: [0xfe,0x76,0x0a,0x7e]

v_ffbh_i32 v5, src_scc
// CHECK: v_ffbh_i32_e32 v5, src_scc              ; encoding: [0xfd,0x76,0x0a,0x7e]

v_ffbh_i32 v5, src_vccz
// CHECK: v_ffbh_i32_e32 v5, src_vccz             ; encoding: [0xfb,0x76,0x0a,0x7e]

v_ffbh_i32 v5, tba_hi
// CHECK: v_ffbh_i32_e32 v5, tba_hi               ; encoding: [0x6d,0x76,0x0a,0x7e]

v_ffbh_i32 v5, tba_lo
// CHECK: v_ffbh_i32_e32 v5, tba_lo               ; encoding: [0x6c,0x76,0x0a,0x7e]

v_ffbh_i32 v5, tma_hi
// CHECK: v_ffbh_i32_e32 v5, tma_hi               ; encoding: [0x6f,0x76,0x0a,0x7e]

v_ffbh_i32 v5, tma_lo
// CHECK: v_ffbh_i32_e32 v5, tma_lo               ; encoding: [0x6e,0x76,0x0a,0x7e]

v_ffbh_i32 v5, ttmp11
// CHECK: v_ffbh_i32_e32 v5, ttmp11               ; encoding: [0x7b,0x76,0x0a,0x7e]

v_ffbh_i32 v5, v1
// CHECK: v_ffbh_i32_e32 v5, v1                   ; encoding: [0x01,0x77,0x0a,0x7e]

v_ffbh_i32 v5, v255
// CHECK: v_ffbh_i32_e32 v5, v255                 ; encoding: [0xff,0x77,0x0a,0x7e]

v_ffbh_i32 v5, vcc_hi
// CHECK: v_ffbh_i32_e32 v5, vcc_hi               ; encoding: [0x6b,0x76,0x0a,0x7e]

v_ffbh_i32 v5, vcc_lo
// CHECK: v_ffbh_i32_e32 v5, vcc_lo               ; encoding: [0x6a,0x76,0x0a,0x7e]

v_ffbh_u32 v255, v1
// CHECK: v_ffbh_u32_e32 v255, v1                 ; encoding: [0x01,0x73,0xfe,0x7f]

v_ffbh_u32 v5, -1
// CHECK: v_ffbh_u32_e32 v5, -1                   ; encoding: [0xc1,0x72,0x0a,0x7e]

v_ffbh_u32 v5, -4.0
// CHECK: v_ffbh_u32_e32 v5, -4.0                 ; encoding: [0xf7,0x72,0x0a,0x7e]

v_ffbh_u32 v5, 0
// CHECK: v_ffbh_u32_e32 v5, 0                    ; encoding: [0x80,0x72,0x0a,0x7e]

v_ffbh_u32 v5, 0.5
// CHECK: v_ffbh_u32_e32 v5, 0.5                  ; encoding: [0xf0,0x72,0x0a,0x7e]

v_ffbh_u32 v5, 0x3f717273
// CHECK: v_ffbh_u32_e32 v5, 0x3f717273           ; encoding: [0xff,0x72,0x0a,0x7e,0x73,0x72,0x71,0x3f]

v_ffbh_u32 v5, 0xaf123456
// CHECK: v_ffbh_u32_e32 v5, 0xaf123456           ; encoding: [0xff,0x72,0x0a,0x7e,0x56,0x34,0x12,0xaf]

v_ffbh_u32 v5, exec_hi
// CHECK: v_ffbh_u32_e32 v5, exec_hi              ; encoding: [0x7f,0x72,0x0a,0x7e]

v_ffbh_u32 v5, exec_lo
// CHECK: v_ffbh_u32_e32 v5, exec_lo              ; encoding: [0x7e,0x72,0x0a,0x7e]

v_ffbh_u32 v5, flat_scratch_hi
// CHECK: v_ffbh_u32_e32 v5, flat_scratch_hi      ; encoding: [0x69,0x72,0x0a,0x7e]

v_ffbh_u32 v5, flat_scratch_lo
// CHECK: v_ffbh_u32_e32 v5, flat_scratch_lo      ; encoding: [0x68,0x72,0x0a,0x7e]

v_ffbh_u32 v5, m0
// CHECK: v_ffbh_u32_e32 v5, m0                   ; encoding: [0x7c,0x72,0x0a,0x7e]

v_ffbh_u32 v5, s1
// CHECK: v_ffbh_u32_e32 v5, s1                   ; encoding: [0x01,0x72,0x0a,0x7e]

v_ffbh_u32 v5, s103
// CHECK: v_ffbh_u32_e32 v5, s103                 ; encoding: [0x67,0x72,0x0a,0x7e]

v_ffbh_u32 v5, src_execz
// CHECK: v_ffbh_u32_e32 v5, src_execz            ; encoding: [0xfc,0x72,0x0a,0x7e]

v_ffbh_u32 v5, src_lds_direct
// CHECK: v_ffbh_u32_e32 v5, src_lds_direct       ; encoding: [0xfe,0x72,0x0a,0x7e]

v_ffbh_u32 v5, src_scc
// CHECK: v_ffbh_u32_e32 v5, src_scc              ; encoding: [0xfd,0x72,0x0a,0x7e]

v_ffbh_u32 v5, src_vccz
// CHECK: v_ffbh_u32_e32 v5, src_vccz             ; encoding: [0xfb,0x72,0x0a,0x7e]

v_ffbh_u32 v5, tba_hi
// CHECK: v_ffbh_u32_e32 v5, tba_hi               ; encoding: [0x6d,0x72,0x0a,0x7e]

v_ffbh_u32 v5, tba_lo
// CHECK: v_ffbh_u32_e32 v5, tba_lo               ; encoding: [0x6c,0x72,0x0a,0x7e]

v_ffbh_u32 v5, tma_hi
// CHECK: v_ffbh_u32_e32 v5, tma_hi               ; encoding: [0x6f,0x72,0x0a,0x7e]

v_ffbh_u32 v5, tma_lo
// CHECK: v_ffbh_u32_e32 v5, tma_lo               ; encoding: [0x6e,0x72,0x0a,0x7e]

v_ffbh_u32 v5, ttmp11
// CHECK: v_ffbh_u32_e32 v5, ttmp11               ; encoding: [0x7b,0x72,0x0a,0x7e]

v_ffbh_u32 v5, v1
// CHECK: v_ffbh_u32_e32 v5, v1                   ; encoding: [0x01,0x73,0x0a,0x7e]

v_ffbh_u32 v5, v255
// CHECK: v_ffbh_u32_e32 v5, v255                 ; encoding: [0xff,0x73,0x0a,0x7e]

v_ffbh_u32 v5, vcc_hi
// CHECK: v_ffbh_u32_e32 v5, vcc_hi               ; encoding: [0x6b,0x72,0x0a,0x7e]

v_ffbh_u32 v5, vcc_lo
// CHECK: v_ffbh_u32_e32 v5, vcc_lo               ; encoding: [0x6a,0x72,0x0a,0x7e]

v_ffbl_b32 v255, v1
// CHECK: v_ffbl_b32_e32 v255, v1                 ; encoding: [0x01,0x75,0xfe,0x7f]

v_ffbl_b32 v5, -1
// CHECK: v_ffbl_b32_e32 v5, -1                   ; encoding: [0xc1,0x74,0x0a,0x7e]

v_ffbl_b32 v5, -4.0
// CHECK: v_ffbl_b32_e32 v5, -4.0                 ; encoding: [0xf7,0x74,0x0a,0x7e]

v_ffbl_b32 v5, 0
// CHECK: v_ffbl_b32_e32 v5, 0                    ; encoding: [0x80,0x74,0x0a,0x7e]

v_ffbl_b32 v5, 0.5
// CHECK: v_ffbl_b32_e32 v5, 0.5                  ; encoding: [0xf0,0x74,0x0a,0x7e]

v_ffbl_b32 v5, 0x3f717273
// CHECK: v_ffbl_b32_e32 v5, 0x3f717273           ; encoding: [0xff,0x74,0x0a,0x7e,0x73,0x72,0x71,0x3f]

v_ffbl_b32 v5, 0xaf123456
// CHECK: v_ffbl_b32_e32 v5, 0xaf123456           ; encoding: [0xff,0x74,0x0a,0x7e,0x56,0x34,0x12,0xaf]

v_ffbl_b32 v5, exec_hi
// CHECK: v_ffbl_b32_e32 v5, exec_hi              ; encoding: [0x7f,0x74,0x0a,0x7e]

v_ffbl_b32 v5, exec_lo
// CHECK: v_ffbl_b32_e32 v5, exec_lo              ; encoding: [0x7e,0x74,0x0a,0x7e]

v_ffbl_b32 v5, flat_scratch_hi
// CHECK: v_ffbl_b32_e32 v5, flat_scratch_hi      ; encoding: [0x69,0x74,0x0a,0x7e]

v_ffbl_b32 v5, flat_scratch_lo
// CHECK: v_ffbl_b32_e32 v5, flat_scratch_lo      ; encoding: [0x68,0x74,0x0a,0x7e]

v_ffbl_b32 v5, m0
// CHECK: v_ffbl_b32_e32 v5, m0                   ; encoding: [0x7c,0x74,0x0a,0x7e]

v_ffbl_b32 v5, s1
// CHECK: v_ffbl_b32_e32 v5, s1                   ; encoding: [0x01,0x74,0x0a,0x7e]

v_ffbl_b32 v5, s103
// CHECK: v_ffbl_b32_e32 v5, s103                 ; encoding: [0x67,0x74,0x0a,0x7e]

v_ffbl_b32 v5, src_execz
// CHECK: v_ffbl_b32_e32 v5, src_execz            ; encoding: [0xfc,0x74,0x0a,0x7e]

v_ffbl_b32 v5, src_lds_direct
// CHECK: v_ffbl_b32_e32 v5, src_lds_direct       ; encoding: [0xfe,0x74,0x0a,0x7e]

v_ffbl_b32 v5, src_scc
// CHECK: v_ffbl_b32_e32 v5, src_scc              ; encoding: [0xfd,0x74,0x0a,0x7e]

v_ffbl_b32 v5, src_vccz
// CHECK: v_ffbl_b32_e32 v5, src_vccz             ; encoding: [0xfb,0x74,0x0a,0x7e]

v_ffbl_b32 v5, tba_hi
// CHECK: v_ffbl_b32_e32 v5, tba_hi               ; encoding: [0x6d,0x74,0x0a,0x7e]

v_ffbl_b32 v5, tba_lo
// CHECK: v_ffbl_b32_e32 v5, tba_lo               ; encoding: [0x6c,0x74,0x0a,0x7e]

v_ffbl_b32 v5, tma_hi
// CHECK: v_ffbl_b32_e32 v5, tma_hi               ; encoding: [0x6f,0x74,0x0a,0x7e]

v_ffbl_b32 v5, tma_lo
// CHECK: v_ffbl_b32_e32 v5, tma_lo               ; encoding: [0x6e,0x74,0x0a,0x7e]

v_ffbl_b32 v5, ttmp11
// CHECK: v_ffbl_b32_e32 v5, ttmp11               ; encoding: [0x7b,0x74,0x0a,0x7e]

v_ffbl_b32 v5, v1
// CHECK: v_ffbl_b32_e32 v5, v1                   ; encoding: [0x01,0x75,0x0a,0x7e]

v_ffbl_b32 v5, v255
// CHECK: v_ffbl_b32_e32 v5, v255                 ; encoding: [0xff,0x75,0x0a,0x7e]

v_ffbl_b32 v5, vcc_hi
// CHECK: v_ffbl_b32_e32 v5, vcc_hi               ; encoding: [0x6b,0x74,0x0a,0x7e]

v_ffbl_b32 v5, vcc_lo
// CHECK: v_ffbl_b32_e32 v5, vcc_lo               ; encoding: [0x6a,0x74,0x0a,0x7e]

v_floor_f32 v255, v1
// CHECK: v_floor_f32_e32 v255, v1                ; encoding: [0x01,0x49,0xfe,0x7f]

v_floor_f32 v5, -1
// CHECK: v_floor_f32_e32 v5, -1                  ; encoding: [0xc1,0x48,0x0a,0x7e]

v_floor_f32 v5, -4.0
// CHECK: v_floor_f32_e32 v5, -4.0                ; encoding: [0xf7,0x48,0x0a,0x7e]

v_floor_f32 v5, 0
// CHECK: v_floor_f32_e32 v5, 0                   ; encoding: [0x80,0x48,0x0a,0x7e]

v_floor_f32 v5, 0.5
// CHECK: v_floor_f32_e32 v5, 0.5                 ; encoding: [0xf0,0x48,0x0a,0x7e]

v_floor_f32 v5, 0x3f717273
// CHECK: v_floor_f32_e32 v5, 0x3f717273          ; encoding: [0xff,0x48,0x0a,0x7e,0x73,0x72,0x71,0x3f]

v_floor_f32 v5, 0xaf123456
// CHECK: v_floor_f32_e32 v5, 0xaf123456          ; encoding: [0xff,0x48,0x0a,0x7e,0x56,0x34,0x12,0xaf]

v_floor_f32 v5, exec_hi
// CHECK: v_floor_f32_e32 v5, exec_hi             ; encoding: [0x7f,0x48,0x0a,0x7e]

v_floor_f32 v5, exec_lo
// CHECK: v_floor_f32_e32 v5, exec_lo             ; encoding: [0x7e,0x48,0x0a,0x7e]

v_floor_f32 v5, flat_scratch_hi
// CHECK: v_floor_f32_e32 v5, flat_scratch_hi     ; encoding: [0x69,0x48,0x0a,0x7e]

v_floor_f32 v5, flat_scratch_lo
// CHECK: v_floor_f32_e32 v5, flat_scratch_lo     ; encoding: [0x68,0x48,0x0a,0x7e]

v_floor_f32 v5, m0
// CHECK: v_floor_f32_e32 v5, m0                  ; encoding: [0x7c,0x48,0x0a,0x7e]

v_floor_f32 v5, s1
// CHECK: v_floor_f32_e32 v5, s1                  ; encoding: [0x01,0x48,0x0a,0x7e]

v_floor_f32 v5, s103
// CHECK: v_floor_f32_e32 v5, s103                ; encoding: [0x67,0x48,0x0a,0x7e]

v_floor_f32 v5, src_execz
// CHECK: v_floor_f32_e32 v5, src_execz           ; encoding: [0xfc,0x48,0x0a,0x7e]

v_floor_f32 v5, src_lds_direct
// CHECK: v_floor_f32_e32 v5, src_lds_direct      ; encoding: [0xfe,0x48,0x0a,0x7e]

v_floor_f32 v5, src_scc
// CHECK: v_floor_f32_e32 v5, src_scc             ; encoding: [0xfd,0x48,0x0a,0x7e]

v_floor_f32 v5, src_vccz
// CHECK: v_floor_f32_e32 v5, src_vccz            ; encoding: [0xfb,0x48,0x0a,0x7e]

v_floor_f32 v5, tba_hi
// CHECK: v_floor_f32_e32 v5, tba_hi              ; encoding: [0x6d,0x48,0x0a,0x7e]

v_floor_f32 v5, tba_lo
// CHECK: v_floor_f32_e32 v5, tba_lo              ; encoding: [0x6c,0x48,0x0a,0x7e]

v_floor_f32 v5, tma_hi
// CHECK: v_floor_f32_e32 v5, tma_hi              ; encoding: [0x6f,0x48,0x0a,0x7e]

v_floor_f32 v5, tma_lo
// CHECK: v_floor_f32_e32 v5, tma_lo              ; encoding: [0x6e,0x48,0x0a,0x7e]

v_floor_f32 v5, ttmp11
// CHECK: v_floor_f32_e32 v5, ttmp11              ; encoding: [0x7b,0x48,0x0a,0x7e]

v_floor_f32 v5, v1
// CHECK: v_floor_f32_e32 v5, v1                  ; encoding: [0x01,0x49,0x0a,0x7e]

v_floor_f32 v5, v255
// CHECK: v_floor_f32_e32 v5, v255                ; encoding: [0xff,0x49,0x0a,0x7e]

v_floor_f32 v5, vcc_hi
// CHECK: v_floor_f32_e32 v5, vcc_hi              ; encoding: [0x6b,0x48,0x0a,0x7e]

v_floor_f32 v5, vcc_lo
// CHECK: v_floor_f32_e32 v5, vcc_lo              ; encoding: [0x6a,0x48,0x0a,0x7e]

v_floor_f64 v[254:255], v[1:2]
// CHECK: v_floor_f64_e32 v[254:255], v[1:2]      ; encoding: [0x01,0x35,0xfc,0x7f]

v_floor_f64 v[5:6], -1
// CHECK: v_floor_f64_e32 v[5:6], -1              ; encoding: [0xc1,0x34,0x0a,0x7e]

v_floor_f64 v[5:6], -4.0
// CHECK: v_floor_f64_e32 v[5:6], -4.0            ; encoding: [0xf7,0x34,0x0a,0x7e]

v_floor_f64 v[5:6], 0
// CHECK: v_floor_f64_e32 v[5:6], 0               ; encoding: [0x80,0x34,0x0a,0x7e]

v_floor_f64 v[5:6], 0.5
// CHECK: v_floor_f64_e32 v[5:6], 0.5             ; encoding: [0xf0,0x34,0x0a,0x7e]

v_floor_f64 v[5:6], 0x3f717273
// CHECK: v_floor_f64_e32 v[5:6], 0x3f717273      ; encoding: [0xff,0x34,0x0a,0x7e,0x73,0x72,0x71,0x3f]

v_floor_f64 v[5:6], 0xaf123456
// CHECK: v_floor_f64_e32 v[5:6], 0xaf123456      ; encoding: [0xff,0x34,0x0a,0x7e,0x56,0x34,0x12,0xaf]

v_floor_f64 v[5:6], exec
// CHECK: v_floor_f64_e32 v[5:6], exec            ; encoding: [0x7e,0x34,0x0a,0x7e]

v_floor_f64 v[5:6], flat_scratch
// CHECK: v_floor_f64_e32 v[5:6], flat_scratch    ; encoding: [0x68,0x34,0x0a,0x7e]

v_floor_f64 v[5:6], s[102:103]
// CHECK: v_floor_f64_e32 v[5:6], s[102:103]      ; encoding: [0x66,0x34,0x0a,0x7e]

v_floor_f64 v[5:6], s[2:3]
// CHECK: v_floor_f64_e32 v[5:6], s[2:3]          ; encoding: [0x02,0x34,0x0a,0x7e]

v_floor_f64 v[5:6], s[4:5]
// CHECK: v_floor_f64_e32 v[5:6], s[4:5]          ; encoding: [0x04,0x34,0x0a,0x7e]

v_floor_f64 v[5:6], src_execz
// CHECK: v_floor_f64_e32 v[5:6], src_execz       ; encoding: [0xfc,0x34,0x0a,0x7e]

v_floor_f64 v[5:6], src_scc
// CHECK: v_floor_f64_e32 v[5:6], src_scc         ; encoding: [0xfd,0x34,0x0a,0x7e]

v_floor_f64 v[5:6], src_vccz
// CHECK: v_floor_f64_e32 v[5:6], src_vccz        ; encoding: [0xfb,0x34,0x0a,0x7e]

v_floor_f64 v[5:6], tba
// CHECK: v_floor_f64_e32 v[5:6], tba             ; encoding: [0x6c,0x34,0x0a,0x7e]

v_floor_f64 v[5:6], tma
// CHECK: v_floor_f64_e32 v[5:6], tma             ; encoding: [0x6e,0x34,0x0a,0x7e]

v_floor_f64 v[5:6], ttmp[10:11]
// CHECK: v_floor_f64_e32 v[5:6], ttmp[10:11]     ; encoding: [0x7a,0x34,0x0a,0x7e]

v_floor_f64 v[5:6], v[1:2]
// CHECK: v_floor_f64_e32 v[5:6], v[1:2]          ; encoding: [0x01,0x35,0x0a,0x7e]

v_floor_f64 v[5:6], v[254:255]
// CHECK: v_floor_f64_e32 v[5:6], v[254:255]      ; encoding: [0xfe,0x35,0x0a,0x7e]

v_floor_f64 v[5:6], vcc
// CHECK: v_floor_f64_e32 v[5:6], vcc             ; encoding: [0x6a,0x34,0x0a,0x7e]

v_fract_f32 v255, v1
// CHECK: v_fract_f32_e32 v255, v1                ; encoding: [0x01,0x41,0xfe,0x7f]

v_fract_f32 v5, -1
// CHECK: v_fract_f32_e32 v5, -1                  ; encoding: [0xc1,0x40,0x0a,0x7e]

v_fract_f32 v5, -4.0
// CHECK: v_fract_f32_e32 v5, -4.0                ; encoding: [0xf7,0x40,0x0a,0x7e]

v_fract_f32 v5, 0
// CHECK: v_fract_f32_e32 v5, 0                   ; encoding: [0x80,0x40,0x0a,0x7e]

v_fract_f32 v5, 0.5
// CHECK: v_fract_f32_e32 v5, 0.5                 ; encoding: [0xf0,0x40,0x0a,0x7e]

v_fract_f32 v5, 0x3f717273
// CHECK: v_fract_f32_e32 v5, 0x3f717273          ; encoding: [0xff,0x40,0x0a,0x7e,0x73,0x72,0x71,0x3f]

v_fract_f32 v5, 0xaf123456
// CHECK: v_fract_f32_e32 v5, 0xaf123456          ; encoding: [0xff,0x40,0x0a,0x7e,0x56,0x34,0x12,0xaf]

v_fract_f32 v5, exec_hi
// CHECK: v_fract_f32_e32 v5, exec_hi             ; encoding: [0x7f,0x40,0x0a,0x7e]

v_fract_f32 v5, exec_lo
// CHECK: v_fract_f32_e32 v5, exec_lo             ; encoding: [0x7e,0x40,0x0a,0x7e]

v_fract_f32 v5, flat_scratch_hi
// CHECK: v_fract_f32_e32 v5, flat_scratch_hi     ; encoding: [0x69,0x40,0x0a,0x7e]

v_fract_f32 v5, flat_scratch_lo
// CHECK: v_fract_f32_e32 v5, flat_scratch_lo     ; encoding: [0x68,0x40,0x0a,0x7e]

v_fract_f32 v5, m0
// CHECK: v_fract_f32_e32 v5, m0                  ; encoding: [0x7c,0x40,0x0a,0x7e]

v_fract_f32 v5, s1
// CHECK: v_fract_f32_e32 v5, s1                  ; encoding: [0x01,0x40,0x0a,0x7e]

v_fract_f32 v5, s103
// CHECK: v_fract_f32_e32 v5, s103                ; encoding: [0x67,0x40,0x0a,0x7e]

v_fract_f32 v5, src_execz
// CHECK: v_fract_f32_e32 v5, src_execz           ; encoding: [0xfc,0x40,0x0a,0x7e]

v_fract_f32 v5, src_lds_direct
// CHECK: v_fract_f32_e32 v5, src_lds_direct      ; encoding: [0xfe,0x40,0x0a,0x7e]

v_fract_f32 v5, src_scc
// CHECK: v_fract_f32_e32 v5, src_scc             ; encoding: [0xfd,0x40,0x0a,0x7e]

v_fract_f32 v5, src_vccz
// CHECK: v_fract_f32_e32 v5, src_vccz            ; encoding: [0xfb,0x40,0x0a,0x7e]

v_fract_f32 v5, tba_hi
// CHECK: v_fract_f32_e32 v5, tba_hi              ; encoding: [0x6d,0x40,0x0a,0x7e]

v_fract_f32 v5, tba_lo
// CHECK: v_fract_f32_e32 v5, tba_lo              ; encoding: [0x6c,0x40,0x0a,0x7e]

v_fract_f32 v5, tma_hi
// CHECK: v_fract_f32_e32 v5, tma_hi              ; encoding: [0x6f,0x40,0x0a,0x7e]

v_fract_f32 v5, tma_lo
// CHECK: v_fract_f32_e32 v5, tma_lo              ; encoding: [0x6e,0x40,0x0a,0x7e]

v_fract_f32 v5, ttmp11
// CHECK: v_fract_f32_e32 v5, ttmp11              ; encoding: [0x7b,0x40,0x0a,0x7e]

v_fract_f32 v5, v1
// CHECK: v_fract_f32_e32 v5, v1                  ; encoding: [0x01,0x41,0x0a,0x7e]

v_fract_f32 v5, v255
// CHECK: v_fract_f32_e32 v5, v255                ; encoding: [0xff,0x41,0x0a,0x7e]

v_fract_f32 v5, vcc_hi
// CHECK: v_fract_f32_e32 v5, vcc_hi              ; encoding: [0x6b,0x40,0x0a,0x7e]

v_fract_f32 v5, vcc_lo
// CHECK: v_fract_f32_e32 v5, vcc_lo              ; encoding: [0x6a,0x40,0x0a,0x7e]

v_fract_f64 v[254:255], v[1:2]
// CHECK: v_fract_f64_e32 v[254:255], v[1:2]      ; encoding: [0x01,0x7d,0xfc,0x7f]

v_fract_f64 v[5:6], -1
// CHECK: v_fract_f64_e32 v[5:6], -1              ; encoding: [0xc1,0x7c,0x0a,0x7e]

v_fract_f64 v[5:6], -4.0
// CHECK: v_fract_f64_e32 v[5:6], -4.0            ; encoding: [0xf7,0x7c,0x0a,0x7e]

v_fract_f64 v[5:6], 0
// CHECK: v_fract_f64_e32 v[5:6], 0               ; encoding: [0x80,0x7c,0x0a,0x7e]

v_fract_f64 v[5:6], 0.5
// CHECK: v_fract_f64_e32 v[5:6], 0.5             ; encoding: [0xf0,0x7c,0x0a,0x7e]

v_fract_f64 v[5:6], 0x3f717273
// CHECK: v_fract_f64_e32 v[5:6], 0x3f717273      ; encoding: [0xff,0x7c,0x0a,0x7e,0x73,0x72,0x71,0x3f]

v_fract_f64 v[5:6], 0xaf123456
// CHECK: v_fract_f64_e32 v[5:6], 0xaf123456      ; encoding: [0xff,0x7c,0x0a,0x7e,0x56,0x34,0x12,0xaf]

v_fract_f64 v[5:6], exec
// CHECK: v_fract_f64_e32 v[5:6], exec            ; encoding: [0x7e,0x7c,0x0a,0x7e]

v_fract_f64 v[5:6], flat_scratch
// CHECK: v_fract_f64_e32 v[5:6], flat_scratch    ; encoding: [0x68,0x7c,0x0a,0x7e]

v_fract_f64 v[5:6], s[102:103]
// CHECK: v_fract_f64_e32 v[5:6], s[102:103]      ; encoding: [0x66,0x7c,0x0a,0x7e]

v_fract_f64 v[5:6], s[2:3]
// CHECK: v_fract_f64_e32 v[5:6], s[2:3]          ; encoding: [0x02,0x7c,0x0a,0x7e]

v_fract_f64 v[5:6], s[4:5]
// CHECK: v_fract_f64_e32 v[5:6], s[4:5]          ; encoding: [0x04,0x7c,0x0a,0x7e]

v_fract_f64 v[5:6], src_execz
// CHECK: v_fract_f64_e32 v[5:6], src_execz       ; encoding: [0xfc,0x7c,0x0a,0x7e]

v_fract_f64 v[5:6], src_scc
// CHECK: v_fract_f64_e32 v[5:6], src_scc         ; encoding: [0xfd,0x7c,0x0a,0x7e]

v_fract_f64 v[5:6], src_vccz
// CHECK: v_fract_f64_e32 v[5:6], src_vccz        ; encoding: [0xfb,0x7c,0x0a,0x7e]

v_fract_f64 v[5:6], tba
// CHECK: v_fract_f64_e32 v[5:6], tba             ; encoding: [0x6c,0x7c,0x0a,0x7e]

v_fract_f64 v[5:6], tma
// CHECK: v_fract_f64_e32 v[5:6], tma             ; encoding: [0x6e,0x7c,0x0a,0x7e]

v_fract_f64 v[5:6], ttmp[10:11]
// CHECK: v_fract_f64_e32 v[5:6], ttmp[10:11]     ; encoding: [0x7a,0x7c,0x0a,0x7e]

v_fract_f64 v[5:6], v[1:2]
// CHECK: v_fract_f64_e32 v[5:6], v[1:2]          ; encoding: [0x01,0x7d,0x0a,0x7e]

v_fract_f64 v[5:6], v[254:255]
// CHECK: v_fract_f64_e32 v[5:6], v[254:255]      ; encoding: [0xfe,0x7d,0x0a,0x7e]

v_fract_f64 v[5:6], vcc
// CHECK: v_fract_f64_e32 v[5:6], vcc             ; encoding: [0x6a,0x7c,0x0a,0x7e]

v_frexp_exp_i32_f32 v255, v1
// CHECK: v_frexp_exp_i32_f32_e32 v255, v1        ; encoding: [0x01,0x7f,0xfe,0x7f]

v_frexp_exp_i32_f32 v5, -1
// CHECK: v_frexp_exp_i32_f32_e32 v5, -1          ; encoding: [0xc1,0x7e,0x0a,0x7e]

v_frexp_exp_i32_f32 v5, -4.0
// CHECK: v_frexp_exp_i32_f32_e32 v5, -4.0        ; encoding: [0xf7,0x7e,0x0a,0x7e]

v_frexp_exp_i32_f32 v5, 0
// CHECK: v_frexp_exp_i32_f32_e32 v5, 0           ; encoding: [0x80,0x7e,0x0a,0x7e]

v_frexp_exp_i32_f32 v5, 0.5
// CHECK: v_frexp_exp_i32_f32_e32 v5, 0.5         ; encoding: [0xf0,0x7e,0x0a,0x7e]

v_frexp_exp_i32_f32 v5, 0x3f717273
// CHECK: v_frexp_exp_i32_f32_e32 v5, 0x3f717273  ; encoding: [0xff,0x7e,0x0a,0x7e,0x73,0x72,0x71,0x3f]

v_frexp_exp_i32_f32 v5, 0xaf123456
// CHECK: v_frexp_exp_i32_f32_e32 v5, 0xaf123456  ; encoding: [0xff,0x7e,0x0a,0x7e,0x56,0x34,0x12,0xaf]

v_frexp_exp_i32_f32 v5, exec_hi
// CHECK: v_frexp_exp_i32_f32_e32 v5, exec_hi     ; encoding: [0x7f,0x7e,0x0a,0x7e]

v_frexp_exp_i32_f32 v5, exec_lo
// CHECK: v_frexp_exp_i32_f32_e32 v5, exec_lo     ; encoding: [0x7e,0x7e,0x0a,0x7e]

v_frexp_exp_i32_f32 v5, flat_scratch_hi
// CHECK: v_frexp_exp_i32_f32_e32 v5, flat_scratch_hi ; encoding: [0x69,0x7e,0x0a,0x7e]

v_frexp_exp_i32_f32 v5, flat_scratch_lo
// CHECK: v_frexp_exp_i32_f32_e32 v5, flat_scratch_lo ; encoding: [0x68,0x7e,0x0a,0x7e]

v_frexp_exp_i32_f32 v5, m0
// CHECK: v_frexp_exp_i32_f32_e32 v5, m0          ; encoding: [0x7c,0x7e,0x0a,0x7e]

v_frexp_exp_i32_f32 v5, s1
// CHECK: v_frexp_exp_i32_f32_e32 v5, s1          ; encoding: [0x01,0x7e,0x0a,0x7e]

v_frexp_exp_i32_f32 v5, s103
// CHECK: v_frexp_exp_i32_f32_e32 v5, s103        ; encoding: [0x67,0x7e,0x0a,0x7e]

v_frexp_exp_i32_f32 v5, src_execz
// CHECK: v_frexp_exp_i32_f32_e32 v5, src_execz   ; encoding: [0xfc,0x7e,0x0a,0x7e]

v_frexp_exp_i32_f32 v5, src_lds_direct
// CHECK: v_frexp_exp_i32_f32_e32 v5, src_lds_direct ; encoding: [0xfe,0x7e,0x0a,0x7e]

v_frexp_exp_i32_f32 v5, src_scc
// CHECK: v_frexp_exp_i32_f32_e32 v5, src_scc     ; encoding: [0xfd,0x7e,0x0a,0x7e]

v_frexp_exp_i32_f32 v5, src_vccz
// CHECK: v_frexp_exp_i32_f32_e32 v5, src_vccz    ; encoding: [0xfb,0x7e,0x0a,0x7e]

v_frexp_exp_i32_f32 v5, tba_hi
// CHECK: v_frexp_exp_i32_f32_e32 v5, tba_hi      ; encoding: [0x6d,0x7e,0x0a,0x7e]

v_frexp_exp_i32_f32 v5, tba_lo
// CHECK: v_frexp_exp_i32_f32_e32 v5, tba_lo      ; encoding: [0x6c,0x7e,0x0a,0x7e]

v_frexp_exp_i32_f32 v5, tma_hi
// CHECK: v_frexp_exp_i32_f32_e32 v5, tma_hi      ; encoding: [0x6f,0x7e,0x0a,0x7e]

v_frexp_exp_i32_f32 v5, tma_lo
// CHECK: v_frexp_exp_i32_f32_e32 v5, tma_lo      ; encoding: [0x6e,0x7e,0x0a,0x7e]

v_frexp_exp_i32_f32 v5, ttmp11
// CHECK: v_frexp_exp_i32_f32_e32 v5, ttmp11      ; encoding: [0x7b,0x7e,0x0a,0x7e]

v_frexp_exp_i32_f32 v5, v1
// CHECK: v_frexp_exp_i32_f32_e32 v5, v1          ; encoding: [0x01,0x7f,0x0a,0x7e]

v_frexp_exp_i32_f32 v5, v255
// CHECK: v_frexp_exp_i32_f32_e32 v5, v255        ; encoding: [0xff,0x7f,0x0a,0x7e]

v_frexp_exp_i32_f32 v5, vcc_hi
// CHECK: v_frexp_exp_i32_f32_e32 v5, vcc_hi      ; encoding: [0x6b,0x7e,0x0a,0x7e]

v_frexp_exp_i32_f32 v5, vcc_lo
// CHECK: v_frexp_exp_i32_f32_e32 v5, vcc_lo      ; encoding: [0x6a,0x7e,0x0a,0x7e]

v_frexp_exp_i32_f64 v255, v[1:2]
// CHECK: v_frexp_exp_i32_f64_e32 v255, v[1:2]    ; encoding: [0x01,0x79,0xfe,0x7f]

v_frexp_exp_i32_f64 v5, -1
// CHECK: v_frexp_exp_i32_f64_e32 v5, -1          ; encoding: [0xc1,0x78,0x0a,0x7e]

v_frexp_exp_i32_f64 v5, -4.0
// CHECK: v_frexp_exp_i32_f64_e32 v5, -4.0        ; encoding: [0xf7,0x78,0x0a,0x7e]

v_frexp_exp_i32_f64 v5, 0
// CHECK: v_frexp_exp_i32_f64_e32 v5, 0           ; encoding: [0x80,0x78,0x0a,0x7e]

v_frexp_exp_i32_f64 v5, 0.5
// CHECK: v_frexp_exp_i32_f64_e32 v5, 0.5         ; encoding: [0xf0,0x78,0x0a,0x7e]

v_frexp_exp_i32_f64 v5, 0x3f717273
// CHECK: v_frexp_exp_i32_f64_e32 v5, 0x3f717273  ; encoding: [0xff,0x78,0x0a,0x7e,0x73,0x72,0x71,0x3f]

v_frexp_exp_i32_f64 v5, 0xaf123456
// CHECK: v_frexp_exp_i32_f64_e32 v5, 0xaf123456  ; encoding: [0xff,0x78,0x0a,0x7e,0x56,0x34,0x12,0xaf]

v_frexp_exp_i32_f64 v5, exec
// CHECK: v_frexp_exp_i32_f64_e32 v5, exec        ; encoding: [0x7e,0x78,0x0a,0x7e]

v_frexp_exp_i32_f64 v5, flat_scratch
// CHECK: v_frexp_exp_i32_f64_e32 v5, flat_scratch ; encoding: [0x68,0x78,0x0a,0x7e]

v_frexp_exp_i32_f64 v5, s[102:103]
// CHECK: v_frexp_exp_i32_f64_e32 v5, s[102:103]  ; encoding: [0x66,0x78,0x0a,0x7e]

v_frexp_exp_i32_f64 v5, s[2:3]
// CHECK: v_frexp_exp_i32_f64_e32 v5, s[2:3]      ; encoding: [0x02,0x78,0x0a,0x7e]

v_frexp_exp_i32_f64 v5, s[4:5]
// CHECK: v_frexp_exp_i32_f64_e32 v5, s[4:5]      ; encoding: [0x04,0x78,0x0a,0x7e]

v_frexp_exp_i32_f64 v5, src_execz
// CHECK: v_frexp_exp_i32_f64_e32 v5, src_execz   ; encoding: [0xfc,0x78,0x0a,0x7e]

v_frexp_exp_i32_f64 v5, src_scc
// CHECK: v_frexp_exp_i32_f64_e32 v5, src_scc     ; encoding: [0xfd,0x78,0x0a,0x7e]

v_frexp_exp_i32_f64 v5, src_vccz
// CHECK: v_frexp_exp_i32_f64_e32 v5, src_vccz    ; encoding: [0xfb,0x78,0x0a,0x7e]

v_frexp_exp_i32_f64 v5, tba
// CHECK: v_frexp_exp_i32_f64_e32 v5, tba         ; encoding: [0x6c,0x78,0x0a,0x7e]

v_frexp_exp_i32_f64 v5, tma
// CHECK: v_frexp_exp_i32_f64_e32 v5, tma         ; encoding: [0x6e,0x78,0x0a,0x7e]

v_frexp_exp_i32_f64 v5, ttmp[10:11]
// CHECK: v_frexp_exp_i32_f64_e32 v5, ttmp[10:11] ; encoding: [0x7a,0x78,0x0a,0x7e]

v_frexp_exp_i32_f64 v5, v[1:2]
// CHECK: v_frexp_exp_i32_f64_e32 v5, v[1:2]      ; encoding: [0x01,0x79,0x0a,0x7e]

v_frexp_exp_i32_f64 v5, v[254:255]
// CHECK: v_frexp_exp_i32_f64_e32 v5, v[254:255]  ; encoding: [0xfe,0x79,0x0a,0x7e]

v_frexp_exp_i32_f64 v5, vcc
// CHECK: v_frexp_exp_i32_f64_e32 v5, vcc         ; encoding: [0x6a,0x78,0x0a,0x7e]

v_frexp_mant_f32 v255, v1
// CHECK: v_frexp_mant_f32_e32 v255, v1           ; encoding: [0x01,0x81,0xfe,0x7f]

v_frexp_mant_f32 v5, -1
// CHECK: v_frexp_mant_f32_e32 v5, -1             ; encoding: [0xc1,0x80,0x0a,0x7e]

v_frexp_mant_f32 v5, -4.0
// CHECK: v_frexp_mant_f32_e32 v5, -4.0           ; encoding: [0xf7,0x80,0x0a,0x7e]

v_frexp_mant_f32 v5, 0
// CHECK: v_frexp_mant_f32_e32 v5, 0              ; encoding: [0x80,0x80,0x0a,0x7e]

v_frexp_mant_f32 v5, 0.5
// CHECK: v_frexp_mant_f32_e32 v5, 0.5            ; encoding: [0xf0,0x80,0x0a,0x7e]

v_frexp_mant_f32 v5, 0x3f717273
// CHECK: v_frexp_mant_f32_e32 v5, 0x3f717273     ; encoding: [0xff,0x80,0x0a,0x7e,0x73,0x72,0x71,0x3f]

v_frexp_mant_f32 v5, 0xaf123456
// CHECK: v_frexp_mant_f32_e32 v5, 0xaf123456     ; encoding: [0xff,0x80,0x0a,0x7e,0x56,0x34,0x12,0xaf]

v_frexp_mant_f32 v5, exec_hi
// CHECK: v_frexp_mant_f32_e32 v5, exec_hi        ; encoding: [0x7f,0x80,0x0a,0x7e]

v_frexp_mant_f32 v5, exec_lo
// CHECK: v_frexp_mant_f32_e32 v5, exec_lo        ; encoding: [0x7e,0x80,0x0a,0x7e]

v_frexp_mant_f32 v5, flat_scratch_hi
// CHECK: v_frexp_mant_f32_e32 v5, flat_scratch_hi ; encoding: [0x69,0x80,0x0a,0x7e]

v_frexp_mant_f32 v5, flat_scratch_lo
// CHECK: v_frexp_mant_f32_e32 v5, flat_scratch_lo ; encoding: [0x68,0x80,0x0a,0x7e]

v_frexp_mant_f32 v5, m0
// CHECK: v_frexp_mant_f32_e32 v5, m0             ; encoding: [0x7c,0x80,0x0a,0x7e]

v_frexp_mant_f32 v5, s1
// CHECK: v_frexp_mant_f32_e32 v5, s1             ; encoding: [0x01,0x80,0x0a,0x7e]

v_frexp_mant_f32 v5, s103
// CHECK: v_frexp_mant_f32_e32 v5, s103           ; encoding: [0x67,0x80,0x0a,0x7e]

v_frexp_mant_f32 v5, src_execz
// CHECK: v_frexp_mant_f32_e32 v5, src_execz      ; encoding: [0xfc,0x80,0x0a,0x7e]

v_frexp_mant_f32 v5, src_lds_direct
// CHECK: v_frexp_mant_f32_e32 v5, src_lds_direct ; encoding: [0xfe,0x80,0x0a,0x7e]

v_frexp_mant_f32 v5, src_scc
// CHECK: v_frexp_mant_f32_e32 v5, src_scc        ; encoding: [0xfd,0x80,0x0a,0x7e]

v_frexp_mant_f32 v5, src_vccz
// CHECK: v_frexp_mant_f32_e32 v5, src_vccz       ; encoding: [0xfb,0x80,0x0a,0x7e]

v_frexp_mant_f32 v5, tba_hi
// CHECK: v_frexp_mant_f32_e32 v5, tba_hi         ; encoding: [0x6d,0x80,0x0a,0x7e]

v_frexp_mant_f32 v5, tba_lo
// CHECK: v_frexp_mant_f32_e32 v5, tba_lo         ; encoding: [0x6c,0x80,0x0a,0x7e]

v_frexp_mant_f32 v5, tma_hi
// CHECK: v_frexp_mant_f32_e32 v5, tma_hi         ; encoding: [0x6f,0x80,0x0a,0x7e]

v_frexp_mant_f32 v5, tma_lo
// CHECK: v_frexp_mant_f32_e32 v5, tma_lo         ; encoding: [0x6e,0x80,0x0a,0x7e]

v_frexp_mant_f32 v5, ttmp11
// CHECK: v_frexp_mant_f32_e32 v5, ttmp11         ; encoding: [0x7b,0x80,0x0a,0x7e]

v_frexp_mant_f32 v5, v1
// CHECK: v_frexp_mant_f32_e32 v5, v1             ; encoding: [0x01,0x81,0x0a,0x7e]

v_frexp_mant_f32 v5, v255
// CHECK: v_frexp_mant_f32_e32 v5, v255           ; encoding: [0xff,0x81,0x0a,0x7e]

v_frexp_mant_f32 v5, vcc_hi
// CHECK: v_frexp_mant_f32_e32 v5, vcc_hi         ; encoding: [0x6b,0x80,0x0a,0x7e]

v_frexp_mant_f32 v5, vcc_lo
// CHECK: v_frexp_mant_f32_e32 v5, vcc_lo         ; encoding: [0x6a,0x80,0x0a,0x7e]

v_frexp_mant_f64 v[254:255], v[1:2]
// CHECK: v_frexp_mant_f64_e32 v[254:255], v[1:2] ; encoding: [0x01,0x7b,0xfc,0x7f]

v_frexp_mant_f64 v[5:6], -1
// CHECK: v_frexp_mant_f64_e32 v[5:6], -1         ; encoding: [0xc1,0x7a,0x0a,0x7e]

v_frexp_mant_f64 v[5:6], -4.0
// CHECK: v_frexp_mant_f64_e32 v[5:6], -4.0       ; encoding: [0xf7,0x7a,0x0a,0x7e]

v_frexp_mant_f64 v[5:6], 0
// CHECK: v_frexp_mant_f64_e32 v[5:6], 0          ; encoding: [0x80,0x7a,0x0a,0x7e]

v_frexp_mant_f64 v[5:6], 0.5
// CHECK: v_frexp_mant_f64_e32 v[5:6], 0.5        ; encoding: [0xf0,0x7a,0x0a,0x7e]

v_frexp_mant_f64 v[5:6], 0x3f717273
// CHECK: v_frexp_mant_f64_e32 v[5:6], 0x3f717273 ; encoding: [0xff,0x7a,0x0a,0x7e,0x73,0x72,0x71,0x3f]

v_frexp_mant_f64 v[5:6], 0xaf123456
// CHECK: v_frexp_mant_f64_e32 v[5:6], 0xaf123456 ; encoding: [0xff,0x7a,0x0a,0x7e,0x56,0x34,0x12,0xaf]

v_frexp_mant_f64 v[5:6], exec
// CHECK: v_frexp_mant_f64_e32 v[5:6], exec       ; encoding: [0x7e,0x7a,0x0a,0x7e]

v_frexp_mant_f64 v[5:6], flat_scratch
// CHECK: v_frexp_mant_f64_e32 v[5:6], flat_scratch ; encoding: [0x68,0x7a,0x0a,0x7e]

v_frexp_mant_f64 v[5:6], s[102:103]
// CHECK: v_frexp_mant_f64_e32 v[5:6], s[102:103] ; encoding: [0x66,0x7a,0x0a,0x7e]

v_frexp_mant_f64 v[5:6], s[2:3]
// CHECK: v_frexp_mant_f64_e32 v[5:6], s[2:3]     ; encoding: [0x02,0x7a,0x0a,0x7e]

v_frexp_mant_f64 v[5:6], s[4:5]
// CHECK: v_frexp_mant_f64_e32 v[5:6], s[4:5]     ; encoding: [0x04,0x7a,0x0a,0x7e]

v_frexp_mant_f64 v[5:6], src_execz
// CHECK: v_frexp_mant_f64_e32 v[5:6], src_execz  ; encoding: [0xfc,0x7a,0x0a,0x7e]

v_frexp_mant_f64 v[5:6], src_scc
// CHECK: v_frexp_mant_f64_e32 v[5:6], src_scc    ; encoding: [0xfd,0x7a,0x0a,0x7e]

v_frexp_mant_f64 v[5:6], src_vccz
// CHECK: v_frexp_mant_f64_e32 v[5:6], src_vccz   ; encoding: [0xfb,0x7a,0x0a,0x7e]

v_frexp_mant_f64 v[5:6], tba
// CHECK: v_frexp_mant_f64_e32 v[5:6], tba        ; encoding: [0x6c,0x7a,0x0a,0x7e]

v_frexp_mant_f64 v[5:6], tma
// CHECK: v_frexp_mant_f64_e32 v[5:6], tma        ; encoding: [0x6e,0x7a,0x0a,0x7e]

v_frexp_mant_f64 v[5:6], ttmp[10:11]
// CHECK: v_frexp_mant_f64_e32 v[5:6], ttmp[10:11] ; encoding: [0x7a,0x7a,0x0a,0x7e]

v_frexp_mant_f64 v[5:6], v[1:2]
// CHECK: v_frexp_mant_f64_e32 v[5:6], v[1:2]     ; encoding: [0x01,0x7b,0x0a,0x7e]

v_frexp_mant_f64 v[5:6], v[254:255]
// CHECK: v_frexp_mant_f64_e32 v[5:6], v[254:255] ; encoding: [0xfe,0x7b,0x0a,0x7e]

v_frexp_mant_f64 v[5:6], vcc
// CHECK: v_frexp_mant_f64_e32 v[5:6], vcc        ; encoding: [0x6a,0x7a,0x0a,0x7e]

v_log_clamp_f32 v255, v1
// CHECK: v_log_clamp_f32_e32 v255, v1            ; encoding: [0x01,0x4d,0xfe,0x7f]

v_log_clamp_f32 v5, -1
// CHECK: v_log_clamp_f32_e32 v5, -1              ; encoding: [0xc1,0x4c,0x0a,0x7e]

v_log_clamp_f32 v5, -4.0
// CHECK: v_log_clamp_f32_e32 v5, -4.0            ; encoding: [0xf7,0x4c,0x0a,0x7e]

v_log_clamp_f32 v5, 0
// CHECK: v_log_clamp_f32_e32 v5, 0               ; encoding: [0x80,0x4c,0x0a,0x7e]

v_log_clamp_f32 v5, 0.5
// CHECK: v_log_clamp_f32_e32 v5, 0.5             ; encoding: [0xf0,0x4c,0x0a,0x7e]

v_log_clamp_f32 v5, 0x3f717273
// CHECK: v_log_clamp_f32_e32 v5, 0x3f717273      ; encoding: [0xff,0x4c,0x0a,0x7e,0x73,0x72,0x71,0x3f]

v_log_clamp_f32 v5, 0xaf123456
// CHECK: v_log_clamp_f32_e32 v5, 0xaf123456      ; encoding: [0xff,0x4c,0x0a,0x7e,0x56,0x34,0x12,0xaf]

v_log_clamp_f32 v5, exec_hi
// CHECK: v_log_clamp_f32_e32 v5, exec_hi         ; encoding: [0x7f,0x4c,0x0a,0x7e]

v_log_clamp_f32 v5, exec_lo
// CHECK: v_log_clamp_f32_e32 v5, exec_lo         ; encoding: [0x7e,0x4c,0x0a,0x7e]

v_log_clamp_f32 v5, flat_scratch_hi
// CHECK: v_log_clamp_f32_e32 v5, flat_scratch_hi ; encoding: [0x69,0x4c,0x0a,0x7e]

v_log_clamp_f32 v5, flat_scratch_lo
// CHECK: v_log_clamp_f32_e32 v5, flat_scratch_lo ; encoding: [0x68,0x4c,0x0a,0x7e]

v_log_clamp_f32 v5, m0
// CHECK: v_log_clamp_f32_e32 v5, m0              ; encoding: [0x7c,0x4c,0x0a,0x7e]

v_log_clamp_f32 v5, s1
// CHECK: v_log_clamp_f32_e32 v5, s1              ; encoding: [0x01,0x4c,0x0a,0x7e]

v_log_clamp_f32 v5, s103
// CHECK: v_log_clamp_f32_e32 v5, s103            ; encoding: [0x67,0x4c,0x0a,0x7e]

v_log_clamp_f32 v5, src_execz
// CHECK: v_log_clamp_f32_e32 v5, src_execz       ; encoding: [0xfc,0x4c,0x0a,0x7e]

v_log_clamp_f32 v5, src_lds_direct
// CHECK: v_log_clamp_f32_e32 v5, src_lds_direct  ; encoding: [0xfe,0x4c,0x0a,0x7e]

v_log_clamp_f32 v5, src_scc
// CHECK: v_log_clamp_f32_e32 v5, src_scc         ; encoding: [0xfd,0x4c,0x0a,0x7e]

v_log_clamp_f32 v5, src_vccz
// CHECK: v_log_clamp_f32_e32 v5, src_vccz        ; encoding: [0xfb,0x4c,0x0a,0x7e]

v_log_clamp_f32 v5, tba_hi
// CHECK: v_log_clamp_f32_e32 v5, tba_hi          ; encoding: [0x6d,0x4c,0x0a,0x7e]

v_log_clamp_f32 v5, tba_lo
// CHECK: v_log_clamp_f32_e32 v5, tba_lo          ; encoding: [0x6c,0x4c,0x0a,0x7e]

v_log_clamp_f32 v5, tma_hi
// CHECK: v_log_clamp_f32_e32 v5, tma_hi          ; encoding: [0x6f,0x4c,0x0a,0x7e]

v_log_clamp_f32 v5, tma_lo
// CHECK: v_log_clamp_f32_e32 v5, tma_lo          ; encoding: [0x6e,0x4c,0x0a,0x7e]

v_log_clamp_f32 v5, ttmp11
// CHECK: v_log_clamp_f32_e32 v5, ttmp11          ; encoding: [0x7b,0x4c,0x0a,0x7e]

v_log_clamp_f32 v5, v1
// CHECK: v_log_clamp_f32_e32 v5, v1              ; encoding: [0x01,0x4d,0x0a,0x7e]

v_log_clamp_f32 v5, v255
// CHECK: v_log_clamp_f32_e32 v5, v255            ; encoding: [0xff,0x4d,0x0a,0x7e]

v_log_clamp_f32 v5, vcc_hi
// CHECK: v_log_clamp_f32_e32 v5, vcc_hi          ; encoding: [0x6b,0x4c,0x0a,0x7e]

v_log_clamp_f32 v5, vcc_lo
// CHECK: v_log_clamp_f32_e32 v5, vcc_lo          ; encoding: [0x6a,0x4c,0x0a,0x7e]

v_log_f32 v255, v1
// CHECK: v_log_f32_e32 v255, v1                  ; encoding: [0x01,0x4f,0xfe,0x7f]

v_log_f32 v5, -1
// CHECK: v_log_f32_e32 v5, -1                    ; encoding: [0xc1,0x4e,0x0a,0x7e]

v_log_f32 v5, -4.0
// CHECK: v_log_f32_e32 v5, -4.0                  ; encoding: [0xf7,0x4e,0x0a,0x7e]

v_log_f32 v5, 0
// CHECK: v_log_f32_e32 v5, 0                     ; encoding: [0x80,0x4e,0x0a,0x7e]

v_log_f32 v5, 0.5
// CHECK: v_log_f32_e32 v5, 0.5                   ; encoding: [0xf0,0x4e,0x0a,0x7e]

v_log_f32 v5, 0x3f717273
// CHECK: v_log_f32_e32 v5, 0x3f717273            ; encoding: [0xff,0x4e,0x0a,0x7e,0x73,0x72,0x71,0x3f]

v_log_f32 v5, 0xaf123456
// CHECK: v_log_f32_e32 v5, 0xaf123456            ; encoding: [0xff,0x4e,0x0a,0x7e,0x56,0x34,0x12,0xaf]

v_log_f32 v5, exec_hi
// CHECK: v_log_f32_e32 v5, exec_hi               ; encoding: [0x7f,0x4e,0x0a,0x7e]

v_log_f32 v5, exec_lo
// CHECK: v_log_f32_e32 v5, exec_lo               ; encoding: [0x7e,0x4e,0x0a,0x7e]

v_log_f32 v5, flat_scratch_hi
// CHECK: v_log_f32_e32 v5, flat_scratch_hi       ; encoding: [0x69,0x4e,0x0a,0x7e]

v_log_f32 v5, flat_scratch_lo
// CHECK: v_log_f32_e32 v5, flat_scratch_lo       ; encoding: [0x68,0x4e,0x0a,0x7e]

v_log_f32 v5, m0
// CHECK: v_log_f32_e32 v5, m0                    ; encoding: [0x7c,0x4e,0x0a,0x7e]

v_log_f32 v5, s1
// CHECK: v_log_f32_e32 v5, s1                    ; encoding: [0x01,0x4e,0x0a,0x7e]

v_log_f32 v5, s103
// CHECK: v_log_f32_e32 v5, s103                  ; encoding: [0x67,0x4e,0x0a,0x7e]

v_log_f32 v5, src_execz
// CHECK: v_log_f32_e32 v5, src_execz             ; encoding: [0xfc,0x4e,0x0a,0x7e]

v_log_f32 v5, src_lds_direct
// CHECK: v_log_f32_e32 v5, src_lds_direct        ; encoding: [0xfe,0x4e,0x0a,0x7e]

v_log_f32 v5, src_scc
// CHECK: v_log_f32_e32 v5, src_scc               ; encoding: [0xfd,0x4e,0x0a,0x7e]

v_log_f32 v5, src_vccz
// CHECK: v_log_f32_e32 v5, src_vccz              ; encoding: [0xfb,0x4e,0x0a,0x7e]

v_log_f32 v5, tba_hi
// CHECK: v_log_f32_e32 v5, tba_hi                ; encoding: [0x6d,0x4e,0x0a,0x7e]

v_log_f32 v5, tba_lo
// CHECK: v_log_f32_e32 v5, tba_lo                ; encoding: [0x6c,0x4e,0x0a,0x7e]

v_log_f32 v5, tma_hi
// CHECK: v_log_f32_e32 v5, tma_hi                ; encoding: [0x6f,0x4e,0x0a,0x7e]

v_log_f32 v5, tma_lo
// CHECK: v_log_f32_e32 v5, tma_lo                ; encoding: [0x6e,0x4e,0x0a,0x7e]

v_log_f32 v5, ttmp11
// CHECK: v_log_f32_e32 v5, ttmp11                ; encoding: [0x7b,0x4e,0x0a,0x7e]

v_log_f32 v5, v1
// CHECK: v_log_f32_e32 v5, v1                    ; encoding: [0x01,0x4f,0x0a,0x7e]

v_log_f32 v5, v255
// CHECK: v_log_f32_e32 v5, v255                  ; encoding: [0xff,0x4f,0x0a,0x7e]

v_log_f32 v5, vcc_hi
// CHECK: v_log_f32_e32 v5, vcc_hi                ; encoding: [0x6b,0x4e,0x0a,0x7e]

v_log_f32 v5, vcc_lo
// CHECK: v_log_f32_e32 v5, vcc_lo                ; encoding: [0x6a,0x4e,0x0a,0x7e]

v_log_legacy_f32 v255, v1
// CHECK: v_log_legacy_f32_e32 v255, v1           ; encoding: [0x01,0x8b,0xfe,0x7f]

v_log_legacy_f32 v5, -1
// CHECK: v_log_legacy_f32_e32 v5, -1             ; encoding: [0xc1,0x8a,0x0a,0x7e]

v_log_legacy_f32 v5, -4.0
// CHECK: v_log_legacy_f32_e32 v5, -4.0           ; encoding: [0xf7,0x8a,0x0a,0x7e]

v_log_legacy_f32 v5, 0
// CHECK: v_log_legacy_f32_e32 v5, 0              ; encoding: [0x80,0x8a,0x0a,0x7e]

v_log_legacy_f32 v5, 0.5
// CHECK: v_log_legacy_f32_e32 v5, 0.5            ; encoding: [0xf0,0x8a,0x0a,0x7e]

v_log_legacy_f32 v5, 0x3f717273
// CHECK: v_log_legacy_f32_e32 v5, 0x3f717273     ; encoding: [0xff,0x8a,0x0a,0x7e,0x73,0x72,0x71,0x3f]

v_log_legacy_f32 v5, 0xaf123456
// CHECK: v_log_legacy_f32_e32 v5, 0xaf123456     ; encoding: [0xff,0x8a,0x0a,0x7e,0x56,0x34,0x12,0xaf]

v_log_legacy_f32 v5, exec_hi
// CHECK: v_log_legacy_f32_e32 v5, exec_hi        ; encoding: [0x7f,0x8a,0x0a,0x7e]

v_log_legacy_f32 v5, exec_lo
// CHECK: v_log_legacy_f32_e32 v5, exec_lo        ; encoding: [0x7e,0x8a,0x0a,0x7e]

v_log_legacy_f32 v5, flat_scratch_hi
// CHECK: v_log_legacy_f32_e32 v5, flat_scratch_hi ; encoding: [0x69,0x8a,0x0a,0x7e]

v_log_legacy_f32 v5, flat_scratch_lo
// CHECK: v_log_legacy_f32_e32 v5, flat_scratch_lo ; encoding: [0x68,0x8a,0x0a,0x7e]

v_log_legacy_f32 v5, m0
// CHECK: v_log_legacy_f32_e32 v5, m0             ; encoding: [0x7c,0x8a,0x0a,0x7e]

v_log_legacy_f32 v5, s1
// CHECK: v_log_legacy_f32_e32 v5, s1             ; encoding: [0x01,0x8a,0x0a,0x7e]

v_log_legacy_f32 v5, s103
// CHECK: v_log_legacy_f32_e32 v5, s103           ; encoding: [0x67,0x8a,0x0a,0x7e]

v_log_legacy_f32 v5, src_execz
// CHECK: v_log_legacy_f32_e32 v5, src_execz      ; encoding: [0xfc,0x8a,0x0a,0x7e]

v_log_legacy_f32 v5, src_lds_direct
// CHECK: v_log_legacy_f32_e32 v5, src_lds_direct ; encoding: [0xfe,0x8a,0x0a,0x7e]

v_log_legacy_f32 v5, src_scc
// CHECK: v_log_legacy_f32_e32 v5, src_scc        ; encoding: [0xfd,0x8a,0x0a,0x7e]

v_log_legacy_f32 v5, src_vccz
// CHECK: v_log_legacy_f32_e32 v5, src_vccz       ; encoding: [0xfb,0x8a,0x0a,0x7e]

v_log_legacy_f32 v5, tba_hi
// CHECK: v_log_legacy_f32_e32 v5, tba_hi         ; encoding: [0x6d,0x8a,0x0a,0x7e]

v_log_legacy_f32 v5, tba_lo
// CHECK: v_log_legacy_f32_e32 v5, tba_lo         ; encoding: [0x6c,0x8a,0x0a,0x7e]

v_log_legacy_f32 v5, tma_hi
// CHECK: v_log_legacy_f32_e32 v5, tma_hi         ; encoding: [0x6f,0x8a,0x0a,0x7e]

v_log_legacy_f32 v5, tma_lo
// CHECK: v_log_legacy_f32_e32 v5, tma_lo         ; encoding: [0x6e,0x8a,0x0a,0x7e]

v_log_legacy_f32 v5, ttmp11
// CHECK: v_log_legacy_f32_e32 v5, ttmp11         ; encoding: [0x7b,0x8a,0x0a,0x7e]

v_log_legacy_f32 v5, v1
// CHECK: v_log_legacy_f32_e32 v5, v1             ; encoding: [0x01,0x8b,0x0a,0x7e]

v_log_legacy_f32 v5, v255
// CHECK: v_log_legacy_f32_e32 v5, v255           ; encoding: [0xff,0x8b,0x0a,0x7e]

v_log_legacy_f32 v5, vcc_hi
// CHECK: v_log_legacy_f32_e32 v5, vcc_hi         ; encoding: [0x6b,0x8a,0x0a,0x7e]

v_log_legacy_f32 v5, vcc_lo
// CHECK: v_log_legacy_f32_e32 v5, vcc_lo         ; encoding: [0x6a,0x8a,0x0a,0x7e]

v_mov_b32 v255, v1
// CHECK: v_mov_b32_e32 v255, v1                  ; encoding: [0x01,0x03,0xfe,0x7f]

v_mov_b32 v5, -1
// CHECK: v_mov_b32_e32 v5, -1                    ; encoding: [0xc1,0x02,0x0a,0x7e]

v_mov_b32 v5, -4.0
// CHECK: v_mov_b32_e32 v5, -4.0                  ; encoding: [0xf7,0x02,0x0a,0x7e]

v_mov_b32 v5, 0
// CHECK: v_mov_b32_e32 v5, 0                     ; encoding: [0x80,0x02,0x0a,0x7e]

v_mov_b32 v5, 0.5
// CHECK: v_mov_b32_e32 v5, 0.5                   ; encoding: [0xf0,0x02,0x0a,0x7e]

v_mov_b32 v5, 0x3f717273
// CHECK: v_mov_b32_e32 v5, 0x3f717273            ; encoding: [0xff,0x02,0x0a,0x7e,0x73,0x72,0x71,0x3f]

v_mov_b32 v5, 0xaf123456
// CHECK: v_mov_b32_e32 v5, 0xaf123456            ; encoding: [0xff,0x02,0x0a,0x7e,0x56,0x34,0x12,0xaf]

v_mov_b32 v5, exec_hi
// CHECK: v_mov_b32_e32 v5, exec_hi               ; encoding: [0x7f,0x02,0x0a,0x7e]

v_mov_b32 v5, exec_lo
// CHECK: v_mov_b32_e32 v5, exec_lo               ; encoding: [0x7e,0x02,0x0a,0x7e]

v_mov_b32 v5, flat_scratch_hi
// CHECK: v_mov_b32_e32 v5, flat_scratch_hi       ; encoding: [0x69,0x02,0x0a,0x7e]

v_mov_b32 v5, flat_scratch_lo
// CHECK: v_mov_b32_e32 v5, flat_scratch_lo       ; encoding: [0x68,0x02,0x0a,0x7e]

v_mov_b32 v5, m0
// CHECK: v_mov_b32_e32 v5, m0                    ; encoding: [0x7c,0x02,0x0a,0x7e]

v_mov_b32 v5, s1
// CHECK: v_mov_b32_e32 v5, s1                    ; encoding: [0x01,0x02,0x0a,0x7e]

v_mov_b32 v5, s103
// CHECK: v_mov_b32_e32 v5, s103                  ; encoding: [0x67,0x02,0x0a,0x7e]

v_mov_b32 v5, src_execz
// CHECK: v_mov_b32_e32 v5, src_execz             ; encoding: [0xfc,0x02,0x0a,0x7e]

v_mov_b32 v5, src_lds_direct
// CHECK: v_mov_b32_e32 v5, src_lds_direct        ; encoding: [0xfe,0x02,0x0a,0x7e]

v_mov_b32 v5, src_scc
// CHECK: v_mov_b32_e32 v5, src_scc               ; encoding: [0xfd,0x02,0x0a,0x7e]

v_mov_b32 v5, src_vccz
// CHECK: v_mov_b32_e32 v5, src_vccz              ; encoding: [0xfb,0x02,0x0a,0x7e]

v_mov_b32 v5, tba_hi
// CHECK: v_mov_b32_e32 v5, tba_hi                ; encoding: [0x6d,0x02,0x0a,0x7e]

v_mov_b32 v5, tba_lo
// CHECK: v_mov_b32_e32 v5, tba_lo                ; encoding: [0x6c,0x02,0x0a,0x7e]

v_mov_b32 v5, tma_hi
// CHECK: v_mov_b32_e32 v5, tma_hi                ; encoding: [0x6f,0x02,0x0a,0x7e]

v_mov_b32 v5, tma_lo
// CHECK: v_mov_b32_e32 v5, tma_lo                ; encoding: [0x6e,0x02,0x0a,0x7e]

v_mov_b32 v5, ttmp11
// CHECK: v_mov_b32_e32 v5, ttmp11                ; encoding: [0x7b,0x02,0x0a,0x7e]

v_mov_b32 v5, v1
// CHECK: v_mov_b32_e32 v5, v1                    ; encoding: [0x01,0x03,0x0a,0x7e]

v_mov_b32 v5, v255
// CHECK: v_mov_b32_e32 v5, v255                  ; encoding: [0xff,0x03,0x0a,0x7e]

v_mov_b32 v5, vcc_hi
// CHECK: v_mov_b32_e32 v5, vcc_hi                ; encoding: [0x6b,0x02,0x0a,0x7e]

v_mov_b32 v5, vcc_lo
// CHECK: v_mov_b32_e32 v5, vcc_lo                ; encoding: [0x6a,0x02,0x0a,0x7e]

v_movreld_b32 v255, v1
// CHECK: v_movreld_b32_e32 v255, v1              ; encoding: [0x01,0x85,0xfe,0x7f]

v_movreld_b32 v5, -1
// CHECK: v_movreld_b32_e32 v5, -1                ; encoding: [0xc1,0x84,0x0a,0x7e]

v_movreld_b32 v5, -4.0
// CHECK: v_movreld_b32_e32 v5, -4.0              ; encoding: [0xf7,0x84,0x0a,0x7e]

v_movreld_b32 v5, 0
// CHECK: v_movreld_b32_e32 v5, 0                 ; encoding: [0x80,0x84,0x0a,0x7e]

v_movreld_b32 v5, 0.5
// CHECK: v_movreld_b32_e32 v5, 0.5               ; encoding: [0xf0,0x84,0x0a,0x7e]

v_movreld_b32 v5, m0
// CHECK: v_movreld_b32_e32 v5, m0                ; encoding: [0x7c,0x84,0x0a,0x7e]

v_movreld_b32 v5, src_lds_direct
// CHECK: v_movreld_b32_e32 v5, src_lds_direct    ; encoding: [0xfe,0x84,0x0a,0x7e]

v_movreld_b32 v5, v1
// CHECK: v_movreld_b32_e32 v5, v1                ; encoding: [0x01,0x85,0x0a,0x7e]

v_movreld_b32 v5, v255
// CHECK: v_movreld_b32_e32 v5, v255              ; encoding: [0xff,0x85,0x0a,0x7e]

v_movrels_b32 v255, v1
// CHECK: v_movrels_b32_e32 v255, v1              ; encoding: [0x01,0x87,0xfe,0x7f]

v_movrels_b32 v5, v1
// CHECK: v_movrels_b32_e32 v5, v1                ; encoding: [0x01,0x87,0x0a,0x7e]

v_movrels_b32 v5, v255
// CHECK: v_movrels_b32_e32 v5, v255              ; encoding: [0xff,0x87,0x0a,0x7e]

v_movrelsd_b32 v255, v1
// CHECK: v_movrelsd_b32_e32 v255, v1             ; encoding: [0x01,0x89,0xfe,0x7f]

v_movrelsd_b32 v5, v1
// CHECK: v_movrelsd_b32_e32 v5, v1               ; encoding: [0x01,0x89,0x0a,0x7e]

v_movrelsd_b32 v5, v255
// CHECK: v_movrelsd_b32_e32 v5, v255             ; encoding: [0xff,0x89,0x0a,0x7e]

v_nop
// CHECK: v_nop                                   ; encoding: [0x00,0x00,0x00,0x7e]

v_not_b32 v255, v1
// CHECK: v_not_b32_e32 v255, v1                  ; encoding: [0x01,0x6f,0xfe,0x7f]

v_not_b32 v5, -1
// CHECK: v_not_b32_e32 v5, -1                    ; encoding: [0xc1,0x6e,0x0a,0x7e]

v_not_b32 v5, -4.0
// CHECK: v_not_b32_e32 v5, -4.0                  ; encoding: [0xf7,0x6e,0x0a,0x7e]

v_not_b32 v5, 0
// CHECK: v_not_b32_e32 v5, 0                     ; encoding: [0x80,0x6e,0x0a,0x7e]

v_not_b32 v5, 0.5
// CHECK: v_not_b32_e32 v5, 0.5                   ; encoding: [0xf0,0x6e,0x0a,0x7e]

v_not_b32 v5, 0x3f717273
// CHECK: v_not_b32_e32 v5, 0x3f717273            ; encoding: [0xff,0x6e,0x0a,0x7e,0x73,0x72,0x71,0x3f]

v_not_b32 v5, 0xaf123456
// CHECK: v_not_b32_e32 v5, 0xaf123456            ; encoding: [0xff,0x6e,0x0a,0x7e,0x56,0x34,0x12,0xaf]

v_not_b32 v5, exec_hi
// CHECK: v_not_b32_e32 v5, exec_hi               ; encoding: [0x7f,0x6e,0x0a,0x7e]

v_not_b32 v5, exec_lo
// CHECK: v_not_b32_e32 v5, exec_lo               ; encoding: [0x7e,0x6e,0x0a,0x7e]

v_not_b32 v5, flat_scratch_hi
// CHECK: v_not_b32_e32 v5, flat_scratch_hi       ; encoding: [0x69,0x6e,0x0a,0x7e]

v_not_b32 v5, flat_scratch_lo
// CHECK: v_not_b32_e32 v5, flat_scratch_lo       ; encoding: [0x68,0x6e,0x0a,0x7e]

v_not_b32 v5, m0
// CHECK: v_not_b32_e32 v5, m0                    ; encoding: [0x7c,0x6e,0x0a,0x7e]

v_not_b32 v5, s1
// CHECK: v_not_b32_e32 v5, s1                    ; encoding: [0x01,0x6e,0x0a,0x7e]

v_not_b32 v5, s103
// CHECK: v_not_b32_e32 v5, s103                  ; encoding: [0x67,0x6e,0x0a,0x7e]

v_not_b32 v5, src_execz
// CHECK: v_not_b32_e32 v5, src_execz             ; encoding: [0xfc,0x6e,0x0a,0x7e]

v_not_b32 v5, src_lds_direct
// CHECK: v_not_b32_e32 v5, src_lds_direct        ; encoding: [0xfe,0x6e,0x0a,0x7e]

v_not_b32 v5, src_scc
// CHECK: v_not_b32_e32 v5, src_scc               ; encoding: [0xfd,0x6e,0x0a,0x7e]

v_not_b32 v5, src_vccz
// CHECK: v_not_b32_e32 v5, src_vccz              ; encoding: [0xfb,0x6e,0x0a,0x7e]

v_not_b32 v5, tba_hi
// CHECK: v_not_b32_e32 v5, tba_hi                ; encoding: [0x6d,0x6e,0x0a,0x7e]

v_not_b32 v5, tba_lo
// CHECK: v_not_b32_e32 v5, tba_lo                ; encoding: [0x6c,0x6e,0x0a,0x7e]

v_not_b32 v5, tma_hi
// CHECK: v_not_b32_e32 v5, tma_hi                ; encoding: [0x6f,0x6e,0x0a,0x7e]

v_not_b32 v5, tma_lo
// CHECK: v_not_b32_e32 v5, tma_lo                ; encoding: [0x6e,0x6e,0x0a,0x7e]

v_not_b32 v5, ttmp11
// CHECK: v_not_b32_e32 v5, ttmp11                ; encoding: [0x7b,0x6e,0x0a,0x7e]

v_not_b32 v5, v1
// CHECK: v_not_b32_e32 v5, v1                    ; encoding: [0x01,0x6f,0x0a,0x7e]

v_not_b32 v5, v255
// CHECK: v_not_b32_e32 v5, v255                  ; encoding: [0xff,0x6f,0x0a,0x7e]

v_not_b32 v5, vcc_hi
// CHECK: v_not_b32_e32 v5, vcc_hi                ; encoding: [0x6b,0x6e,0x0a,0x7e]

v_not_b32 v5, vcc_lo
// CHECK: v_not_b32_e32 v5, vcc_lo                ; encoding: [0x6a,0x6e,0x0a,0x7e]

v_rcp_clamp_f32 v255, v1
// CHECK: v_rcp_clamp_f32_e32 v255, v1            ; encoding: [0x01,0x51,0xfe,0x7f]

v_rcp_clamp_f32 v5, -1
// CHECK: v_rcp_clamp_f32_e32 v5, -1              ; encoding: [0xc1,0x50,0x0a,0x7e]

v_rcp_clamp_f32 v5, -4.0
// CHECK: v_rcp_clamp_f32_e32 v5, -4.0            ; encoding: [0xf7,0x50,0x0a,0x7e]

v_rcp_clamp_f32 v5, 0
// CHECK: v_rcp_clamp_f32_e32 v5, 0               ; encoding: [0x80,0x50,0x0a,0x7e]

v_rcp_clamp_f32 v5, 0.5
// CHECK: v_rcp_clamp_f32_e32 v5, 0.5             ; encoding: [0xf0,0x50,0x0a,0x7e]

v_rcp_clamp_f32 v5, 0x3f717273
// CHECK: v_rcp_clamp_f32_e32 v5, 0x3f717273      ; encoding: [0xff,0x50,0x0a,0x7e,0x73,0x72,0x71,0x3f]

v_rcp_clamp_f32 v5, 0xaf123456
// CHECK: v_rcp_clamp_f32_e32 v5, 0xaf123456      ; encoding: [0xff,0x50,0x0a,0x7e,0x56,0x34,0x12,0xaf]

v_rcp_clamp_f32 v5, exec_hi
// CHECK: v_rcp_clamp_f32_e32 v5, exec_hi         ; encoding: [0x7f,0x50,0x0a,0x7e]

v_rcp_clamp_f32 v5, exec_lo
// CHECK: v_rcp_clamp_f32_e32 v5, exec_lo         ; encoding: [0x7e,0x50,0x0a,0x7e]

v_rcp_clamp_f32 v5, flat_scratch_hi
// CHECK: v_rcp_clamp_f32_e32 v5, flat_scratch_hi ; encoding: [0x69,0x50,0x0a,0x7e]

v_rcp_clamp_f32 v5, flat_scratch_lo
// CHECK: v_rcp_clamp_f32_e32 v5, flat_scratch_lo ; encoding: [0x68,0x50,0x0a,0x7e]

v_rcp_clamp_f32 v5, m0
// CHECK: v_rcp_clamp_f32_e32 v5, m0              ; encoding: [0x7c,0x50,0x0a,0x7e]

v_rcp_clamp_f32 v5, s1
// CHECK: v_rcp_clamp_f32_e32 v5, s1              ; encoding: [0x01,0x50,0x0a,0x7e]

v_rcp_clamp_f32 v5, s103
// CHECK: v_rcp_clamp_f32_e32 v5, s103            ; encoding: [0x67,0x50,0x0a,0x7e]

v_rcp_clamp_f32 v5, src_execz
// CHECK: v_rcp_clamp_f32_e32 v5, src_execz       ; encoding: [0xfc,0x50,0x0a,0x7e]

v_rcp_clamp_f32 v5, src_lds_direct
// CHECK: v_rcp_clamp_f32_e32 v5, src_lds_direct  ; encoding: [0xfe,0x50,0x0a,0x7e]

v_rcp_clamp_f32 v5, src_scc
// CHECK: v_rcp_clamp_f32_e32 v5, src_scc         ; encoding: [0xfd,0x50,0x0a,0x7e]

v_rcp_clamp_f32 v5, src_vccz
// CHECK: v_rcp_clamp_f32_e32 v5, src_vccz        ; encoding: [0xfb,0x50,0x0a,0x7e]

v_rcp_clamp_f32 v5, tba_hi
// CHECK: v_rcp_clamp_f32_e32 v5, tba_hi          ; encoding: [0x6d,0x50,0x0a,0x7e]

v_rcp_clamp_f32 v5, tba_lo
// CHECK: v_rcp_clamp_f32_e32 v5, tba_lo          ; encoding: [0x6c,0x50,0x0a,0x7e]

v_rcp_clamp_f32 v5, tma_hi
// CHECK: v_rcp_clamp_f32_e32 v5, tma_hi          ; encoding: [0x6f,0x50,0x0a,0x7e]

v_rcp_clamp_f32 v5, tma_lo
// CHECK: v_rcp_clamp_f32_e32 v5, tma_lo          ; encoding: [0x6e,0x50,0x0a,0x7e]

v_rcp_clamp_f32 v5, ttmp11
// CHECK: v_rcp_clamp_f32_e32 v5, ttmp11          ; encoding: [0x7b,0x50,0x0a,0x7e]

v_rcp_clamp_f32 v5, v1
// CHECK: v_rcp_clamp_f32_e32 v5, v1              ; encoding: [0x01,0x51,0x0a,0x7e]

v_rcp_clamp_f32 v5, v255
// CHECK: v_rcp_clamp_f32_e32 v5, v255            ; encoding: [0xff,0x51,0x0a,0x7e]

v_rcp_clamp_f32 v5, vcc_hi
// CHECK: v_rcp_clamp_f32_e32 v5, vcc_hi          ; encoding: [0x6b,0x50,0x0a,0x7e]

v_rcp_clamp_f32 v5, vcc_lo
// CHECK: v_rcp_clamp_f32_e32 v5, vcc_lo          ; encoding: [0x6a,0x50,0x0a,0x7e]

v_rcp_clamp_f64 v[254:255], v[1:2]
// CHECK: v_rcp_clamp_f64_e32 v[254:255], v[1:2]  ; encoding: [0x01,0x61,0xfc,0x7f]

v_rcp_clamp_f64 v[5:6], -1
// CHECK: v_rcp_clamp_f64_e32 v[5:6], -1          ; encoding: [0xc1,0x60,0x0a,0x7e]

v_rcp_clamp_f64 v[5:6], -4.0
// CHECK: v_rcp_clamp_f64_e32 v[5:6], -4.0        ; encoding: [0xf7,0x60,0x0a,0x7e]

v_rcp_clamp_f64 v[5:6], 0
// CHECK: v_rcp_clamp_f64_e32 v[5:6], 0           ; encoding: [0x80,0x60,0x0a,0x7e]

v_rcp_clamp_f64 v[5:6], 0.5
// CHECK: v_rcp_clamp_f64_e32 v[5:6], 0.5         ; encoding: [0xf0,0x60,0x0a,0x7e]

v_rcp_clamp_f64 v[5:6], 0x3f717273
// CHECK: v_rcp_clamp_f64_e32 v[5:6], 0x3f717273  ; encoding: [0xff,0x60,0x0a,0x7e,0x73,0x72,0x71,0x3f]

v_rcp_clamp_f64 v[5:6], 0xaf123456
// CHECK: v_rcp_clamp_f64_e32 v[5:6], 0xaf123456  ; encoding: [0xff,0x60,0x0a,0x7e,0x56,0x34,0x12,0xaf]

v_rcp_clamp_f64 v[5:6], exec
// CHECK: v_rcp_clamp_f64_e32 v[5:6], exec        ; encoding: [0x7e,0x60,0x0a,0x7e]

v_rcp_clamp_f64 v[5:6], flat_scratch
// CHECK: v_rcp_clamp_f64_e32 v[5:6], flat_scratch ; encoding: [0x68,0x60,0x0a,0x7e]

v_rcp_clamp_f64 v[5:6], s[102:103]
// CHECK: v_rcp_clamp_f64_e32 v[5:6], s[102:103]  ; encoding: [0x66,0x60,0x0a,0x7e]

v_rcp_clamp_f64 v[5:6], s[2:3]
// CHECK: v_rcp_clamp_f64_e32 v[5:6], s[2:3]      ; encoding: [0x02,0x60,0x0a,0x7e]

v_rcp_clamp_f64 v[5:6], s[4:5]
// CHECK: v_rcp_clamp_f64_e32 v[5:6], s[4:5]      ; encoding: [0x04,0x60,0x0a,0x7e]

v_rcp_clamp_f64 v[5:6], src_execz
// CHECK: v_rcp_clamp_f64_e32 v[5:6], src_execz   ; encoding: [0xfc,0x60,0x0a,0x7e]

v_rcp_clamp_f64 v[5:6], src_scc
// CHECK: v_rcp_clamp_f64_e32 v[5:6], src_scc     ; encoding: [0xfd,0x60,0x0a,0x7e]

v_rcp_clamp_f64 v[5:6], src_vccz
// CHECK: v_rcp_clamp_f64_e32 v[5:6], src_vccz    ; encoding: [0xfb,0x60,0x0a,0x7e]

v_rcp_clamp_f64 v[5:6], tba
// CHECK: v_rcp_clamp_f64_e32 v[5:6], tba         ; encoding: [0x6c,0x60,0x0a,0x7e]

v_rcp_clamp_f64 v[5:6], tma
// CHECK: v_rcp_clamp_f64_e32 v[5:6], tma         ; encoding: [0x6e,0x60,0x0a,0x7e]

v_rcp_clamp_f64 v[5:6], ttmp[10:11]
// CHECK: v_rcp_clamp_f64_e32 v[5:6], ttmp[10:11] ; encoding: [0x7a,0x60,0x0a,0x7e]

v_rcp_clamp_f64 v[5:6], v[1:2]
// CHECK: v_rcp_clamp_f64_e32 v[5:6], v[1:2]      ; encoding: [0x01,0x61,0x0a,0x7e]

v_rcp_clamp_f64 v[5:6], v[254:255]
// CHECK: v_rcp_clamp_f64_e32 v[5:6], v[254:255]  ; encoding: [0xfe,0x61,0x0a,0x7e]

v_rcp_clamp_f64 v[5:6], vcc
// CHECK: v_rcp_clamp_f64_e32 v[5:6], vcc         ; encoding: [0x6a,0x60,0x0a,0x7e]

v_rcp_f32 v255, v1
// CHECK: v_rcp_f32_e32 v255, v1                  ; encoding: [0x01,0x55,0xfe,0x7f]

v_rcp_f32 v5, -1
// CHECK: v_rcp_f32_e32 v5, -1                    ; encoding: [0xc1,0x54,0x0a,0x7e]

v_rcp_f32 v5, -4.0
// CHECK: v_rcp_f32_e32 v5, -4.0                  ; encoding: [0xf7,0x54,0x0a,0x7e]

v_rcp_f32 v5, 0
// CHECK: v_rcp_f32_e32 v5, 0                     ; encoding: [0x80,0x54,0x0a,0x7e]

v_rcp_f32 v5, 0.5
// CHECK: v_rcp_f32_e32 v5, 0.5                   ; encoding: [0xf0,0x54,0x0a,0x7e]

v_rcp_f32 v5, 0x3f717273
// CHECK: v_rcp_f32_e32 v5, 0x3f717273            ; encoding: [0xff,0x54,0x0a,0x7e,0x73,0x72,0x71,0x3f]

v_rcp_f32 v5, 0xaf123456
// CHECK: v_rcp_f32_e32 v5, 0xaf123456            ; encoding: [0xff,0x54,0x0a,0x7e,0x56,0x34,0x12,0xaf]

v_rcp_f32 v5, exec_hi
// CHECK: v_rcp_f32_e32 v5, exec_hi               ; encoding: [0x7f,0x54,0x0a,0x7e]

v_rcp_f32 v5, exec_lo
// CHECK: v_rcp_f32_e32 v5, exec_lo               ; encoding: [0x7e,0x54,0x0a,0x7e]

v_rcp_f32 v5, flat_scratch_hi
// CHECK: v_rcp_f32_e32 v5, flat_scratch_hi       ; encoding: [0x69,0x54,0x0a,0x7e]

v_rcp_f32 v5, flat_scratch_lo
// CHECK: v_rcp_f32_e32 v5, flat_scratch_lo       ; encoding: [0x68,0x54,0x0a,0x7e]

v_rcp_f32 v5, m0
// CHECK: v_rcp_f32_e32 v5, m0                    ; encoding: [0x7c,0x54,0x0a,0x7e]

v_rcp_f32 v5, s1
// CHECK: v_rcp_f32_e32 v5, s1                    ; encoding: [0x01,0x54,0x0a,0x7e]

v_rcp_f32 v5, s103
// CHECK: v_rcp_f32_e32 v5, s103                  ; encoding: [0x67,0x54,0x0a,0x7e]

v_rcp_f32 v5, src_execz
// CHECK: v_rcp_f32_e32 v5, src_execz             ; encoding: [0xfc,0x54,0x0a,0x7e]

v_rcp_f32 v5, src_lds_direct
// CHECK: v_rcp_f32_e32 v5, src_lds_direct        ; encoding: [0xfe,0x54,0x0a,0x7e]

v_rcp_f32 v5, src_scc
// CHECK: v_rcp_f32_e32 v5, src_scc               ; encoding: [0xfd,0x54,0x0a,0x7e]

v_rcp_f32 v5, src_vccz
// CHECK: v_rcp_f32_e32 v5, src_vccz              ; encoding: [0xfb,0x54,0x0a,0x7e]

v_rcp_f32 v5, tba_hi
// CHECK: v_rcp_f32_e32 v5, tba_hi                ; encoding: [0x6d,0x54,0x0a,0x7e]

v_rcp_f32 v5, tba_lo
// CHECK: v_rcp_f32_e32 v5, tba_lo                ; encoding: [0x6c,0x54,0x0a,0x7e]

v_rcp_f32 v5, tma_hi
// CHECK: v_rcp_f32_e32 v5, tma_hi                ; encoding: [0x6f,0x54,0x0a,0x7e]

v_rcp_f32 v5, tma_lo
// CHECK: v_rcp_f32_e32 v5, tma_lo                ; encoding: [0x6e,0x54,0x0a,0x7e]

v_rcp_f32 v5, ttmp11
// CHECK: v_rcp_f32_e32 v5, ttmp11                ; encoding: [0x7b,0x54,0x0a,0x7e]

v_rcp_f32 v5, v1
// CHECK: v_rcp_f32_e32 v5, v1                    ; encoding: [0x01,0x55,0x0a,0x7e]

v_rcp_f32 v5, v255
// CHECK: v_rcp_f32_e32 v5, v255                  ; encoding: [0xff,0x55,0x0a,0x7e]

v_rcp_f32 v5, vcc_hi
// CHECK: v_rcp_f32_e32 v5, vcc_hi                ; encoding: [0x6b,0x54,0x0a,0x7e]

v_rcp_f32 v5, vcc_lo
// CHECK: v_rcp_f32_e32 v5, vcc_lo                ; encoding: [0x6a,0x54,0x0a,0x7e]

v_rcp_f64 v[254:255], v[1:2]
// CHECK: v_rcp_f64_e32 v[254:255], v[1:2]        ; encoding: [0x01,0x5f,0xfc,0x7f]

v_rcp_f64 v[5:6], -1
// CHECK: v_rcp_f64_e32 v[5:6], -1                ; encoding: [0xc1,0x5e,0x0a,0x7e]

v_rcp_f64 v[5:6], -4.0
// CHECK: v_rcp_f64_e32 v[5:6], -4.0              ; encoding: [0xf7,0x5e,0x0a,0x7e]

v_rcp_f64 v[5:6], 0
// CHECK: v_rcp_f64_e32 v[5:6], 0                 ; encoding: [0x80,0x5e,0x0a,0x7e]

v_rcp_f64 v[5:6], 0.5
// CHECK: v_rcp_f64_e32 v[5:6], 0.5               ; encoding: [0xf0,0x5e,0x0a,0x7e]

v_rcp_f64 v[5:6], 0x3f717273
// CHECK: v_rcp_f64_e32 v[5:6], 0x3f717273        ; encoding: [0xff,0x5e,0x0a,0x7e,0x73,0x72,0x71,0x3f]

v_rcp_f64 v[5:6], 0xaf123456
// CHECK: v_rcp_f64_e32 v[5:6], 0xaf123456        ; encoding: [0xff,0x5e,0x0a,0x7e,0x56,0x34,0x12,0xaf]

v_rcp_f64 v[5:6], exec
// CHECK: v_rcp_f64_e32 v[5:6], exec              ; encoding: [0x7e,0x5e,0x0a,0x7e]

v_rcp_f64 v[5:6], flat_scratch
// CHECK: v_rcp_f64_e32 v[5:6], flat_scratch      ; encoding: [0x68,0x5e,0x0a,0x7e]

v_rcp_f64 v[5:6], s[102:103]
// CHECK: v_rcp_f64_e32 v[5:6], s[102:103]        ; encoding: [0x66,0x5e,0x0a,0x7e]

v_rcp_f64 v[5:6], s[2:3]
// CHECK: v_rcp_f64_e32 v[5:6], s[2:3]            ; encoding: [0x02,0x5e,0x0a,0x7e]

v_rcp_f64 v[5:6], s[4:5]
// CHECK: v_rcp_f64_e32 v[5:6], s[4:5]            ; encoding: [0x04,0x5e,0x0a,0x7e]

v_rcp_f64 v[5:6], src_execz
// CHECK: v_rcp_f64_e32 v[5:6], src_execz         ; encoding: [0xfc,0x5e,0x0a,0x7e]

v_rcp_f64 v[5:6], src_scc
// CHECK: v_rcp_f64_e32 v[5:6], src_scc           ; encoding: [0xfd,0x5e,0x0a,0x7e]

v_rcp_f64 v[5:6], src_vccz
// CHECK: v_rcp_f64_e32 v[5:6], src_vccz          ; encoding: [0xfb,0x5e,0x0a,0x7e]

v_rcp_f64 v[5:6], tba
// CHECK: v_rcp_f64_e32 v[5:6], tba               ; encoding: [0x6c,0x5e,0x0a,0x7e]

v_rcp_f64 v[5:6], tma
// CHECK: v_rcp_f64_e32 v[5:6], tma               ; encoding: [0x6e,0x5e,0x0a,0x7e]

v_rcp_f64 v[5:6], ttmp[10:11]
// CHECK: v_rcp_f64_e32 v[5:6], ttmp[10:11]       ; encoding: [0x7a,0x5e,0x0a,0x7e]

v_rcp_f64 v[5:6], v[1:2]
// CHECK: v_rcp_f64_e32 v[5:6], v[1:2]            ; encoding: [0x01,0x5f,0x0a,0x7e]

v_rcp_f64 v[5:6], v[254:255]
// CHECK: v_rcp_f64_e32 v[5:6], v[254:255]        ; encoding: [0xfe,0x5f,0x0a,0x7e]

v_rcp_f64 v[5:6], vcc
// CHECK: v_rcp_f64_e32 v[5:6], vcc               ; encoding: [0x6a,0x5e,0x0a,0x7e]

v_rcp_iflag_f32 v255, v1
// CHECK: v_rcp_iflag_f32_e32 v255, v1            ; encoding: [0x01,0x57,0xfe,0x7f]

v_rcp_iflag_f32 v5, -1
// CHECK: v_rcp_iflag_f32_e32 v5, -1              ; encoding: [0xc1,0x56,0x0a,0x7e]

v_rcp_iflag_f32 v5, -4.0
// CHECK: v_rcp_iflag_f32_e32 v5, -4.0            ; encoding: [0xf7,0x56,0x0a,0x7e]

v_rcp_iflag_f32 v5, 0
// CHECK: v_rcp_iflag_f32_e32 v5, 0               ; encoding: [0x80,0x56,0x0a,0x7e]

v_rcp_iflag_f32 v5, 0.5
// CHECK: v_rcp_iflag_f32_e32 v5, 0.5             ; encoding: [0xf0,0x56,0x0a,0x7e]

v_rcp_iflag_f32 v5, 0x3f717273
// CHECK: v_rcp_iflag_f32_e32 v5, 0x3f717273      ; encoding: [0xff,0x56,0x0a,0x7e,0x73,0x72,0x71,0x3f]

v_rcp_iflag_f32 v5, 0xaf123456
// CHECK: v_rcp_iflag_f32_e32 v5, 0xaf123456      ; encoding: [0xff,0x56,0x0a,0x7e,0x56,0x34,0x12,0xaf]

v_rcp_iflag_f32 v5, exec_hi
// CHECK: v_rcp_iflag_f32_e32 v5, exec_hi         ; encoding: [0x7f,0x56,0x0a,0x7e]

v_rcp_iflag_f32 v5, exec_lo
// CHECK: v_rcp_iflag_f32_e32 v5, exec_lo         ; encoding: [0x7e,0x56,0x0a,0x7e]

v_rcp_iflag_f32 v5, flat_scratch_hi
// CHECK: v_rcp_iflag_f32_e32 v5, flat_scratch_hi ; encoding: [0x69,0x56,0x0a,0x7e]

v_rcp_iflag_f32 v5, flat_scratch_lo
// CHECK: v_rcp_iflag_f32_e32 v5, flat_scratch_lo ; encoding: [0x68,0x56,0x0a,0x7e]

v_rcp_iflag_f32 v5, m0
// CHECK: v_rcp_iflag_f32_e32 v5, m0              ; encoding: [0x7c,0x56,0x0a,0x7e]

v_rcp_iflag_f32 v5, s1
// CHECK: v_rcp_iflag_f32_e32 v5, s1              ; encoding: [0x01,0x56,0x0a,0x7e]

v_rcp_iflag_f32 v5, s103
// CHECK: v_rcp_iflag_f32_e32 v5, s103            ; encoding: [0x67,0x56,0x0a,0x7e]

v_rcp_iflag_f32 v5, src_execz
// CHECK: v_rcp_iflag_f32_e32 v5, src_execz       ; encoding: [0xfc,0x56,0x0a,0x7e]

v_rcp_iflag_f32 v5, src_lds_direct
// CHECK: v_rcp_iflag_f32_e32 v5, src_lds_direct  ; encoding: [0xfe,0x56,0x0a,0x7e]

v_rcp_iflag_f32 v5, src_scc
// CHECK: v_rcp_iflag_f32_e32 v5, src_scc         ; encoding: [0xfd,0x56,0x0a,0x7e]

v_rcp_iflag_f32 v5, src_vccz
// CHECK: v_rcp_iflag_f32_e32 v5, src_vccz        ; encoding: [0xfb,0x56,0x0a,0x7e]

v_rcp_iflag_f32 v5, tba_hi
// CHECK: v_rcp_iflag_f32_e32 v5, tba_hi          ; encoding: [0x6d,0x56,0x0a,0x7e]

v_rcp_iflag_f32 v5, tba_lo
// CHECK: v_rcp_iflag_f32_e32 v5, tba_lo          ; encoding: [0x6c,0x56,0x0a,0x7e]

v_rcp_iflag_f32 v5, tma_hi
// CHECK: v_rcp_iflag_f32_e32 v5, tma_hi          ; encoding: [0x6f,0x56,0x0a,0x7e]

v_rcp_iflag_f32 v5, tma_lo
// CHECK: v_rcp_iflag_f32_e32 v5, tma_lo          ; encoding: [0x6e,0x56,0x0a,0x7e]

v_rcp_iflag_f32 v5, ttmp11
// CHECK: v_rcp_iflag_f32_e32 v5, ttmp11          ; encoding: [0x7b,0x56,0x0a,0x7e]

v_rcp_iflag_f32 v5, v1
// CHECK: v_rcp_iflag_f32_e32 v5, v1              ; encoding: [0x01,0x57,0x0a,0x7e]

v_rcp_iflag_f32 v5, v255
// CHECK: v_rcp_iflag_f32_e32 v5, v255            ; encoding: [0xff,0x57,0x0a,0x7e]

v_rcp_iflag_f32 v5, vcc_hi
// CHECK: v_rcp_iflag_f32_e32 v5, vcc_hi          ; encoding: [0x6b,0x56,0x0a,0x7e]

v_rcp_iflag_f32 v5, vcc_lo
// CHECK: v_rcp_iflag_f32_e32 v5, vcc_lo          ; encoding: [0x6a,0x56,0x0a,0x7e]

v_rcp_legacy_f32 v255, v1
// CHECK: v_rcp_legacy_f32_e32 v255, v1           ; encoding: [0x01,0x53,0xfe,0x7f]

v_rcp_legacy_f32 v5, -1
// CHECK: v_rcp_legacy_f32_e32 v5, -1             ; encoding: [0xc1,0x52,0x0a,0x7e]

v_rcp_legacy_f32 v5, -4.0
// CHECK: v_rcp_legacy_f32_e32 v5, -4.0           ; encoding: [0xf7,0x52,0x0a,0x7e]

v_rcp_legacy_f32 v5, 0
// CHECK: v_rcp_legacy_f32_e32 v5, 0              ; encoding: [0x80,0x52,0x0a,0x7e]

v_rcp_legacy_f32 v5, 0.5
// CHECK: v_rcp_legacy_f32_e32 v5, 0.5            ; encoding: [0xf0,0x52,0x0a,0x7e]

v_rcp_legacy_f32 v5, 0x3f717273
// CHECK: v_rcp_legacy_f32_e32 v5, 0x3f717273     ; encoding: [0xff,0x52,0x0a,0x7e,0x73,0x72,0x71,0x3f]

v_rcp_legacy_f32 v5, 0xaf123456
// CHECK: v_rcp_legacy_f32_e32 v5, 0xaf123456     ; encoding: [0xff,0x52,0x0a,0x7e,0x56,0x34,0x12,0xaf]

v_rcp_legacy_f32 v5, exec_hi
// CHECK: v_rcp_legacy_f32_e32 v5, exec_hi        ; encoding: [0x7f,0x52,0x0a,0x7e]

v_rcp_legacy_f32 v5, exec_lo
// CHECK: v_rcp_legacy_f32_e32 v5, exec_lo        ; encoding: [0x7e,0x52,0x0a,0x7e]

v_rcp_legacy_f32 v5, flat_scratch_hi
// CHECK: v_rcp_legacy_f32_e32 v5, flat_scratch_hi ; encoding: [0x69,0x52,0x0a,0x7e]

v_rcp_legacy_f32 v5, flat_scratch_lo
// CHECK: v_rcp_legacy_f32_e32 v5, flat_scratch_lo ; encoding: [0x68,0x52,0x0a,0x7e]

v_rcp_legacy_f32 v5, m0
// CHECK: v_rcp_legacy_f32_e32 v5, m0             ; encoding: [0x7c,0x52,0x0a,0x7e]

v_rcp_legacy_f32 v5, s1
// CHECK: v_rcp_legacy_f32_e32 v5, s1             ; encoding: [0x01,0x52,0x0a,0x7e]

v_rcp_legacy_f32 v5, s103
// CHECK: v_rcp_legacy_f32_e32 v5, s103           ; encoding: [0x67,0x52,0x0a,0x7e]

v_rcp_legacy_f32 v5, src_execz
// CHECK: v_rcp_legacy_f32_e32 v5, src_execz      ; encoding: [0xfc,0x52,0x0a,0x7e]

v_rcp_legacy_f32 v5, src_lds_direct
// CHECK: v_rcp_legacy_f32_e32 v5, src_lds_direct ; encoding: [0xfe,0x52,0x0a,0x7e]

v_rcp_legacy_f32 v5, src_scc
// CHECK: v_rcp_legacy_f32_e32 v5, src_scc        ; encoding: [0xfd,0x52,0x0a,0x7e]

v_rcp_legacy_f32 v5, src_vccz
// CHECK: v_rcp_legacy_f32_e32 v5, src_vccz       ; encoding: [0xfb,0x52,0x0a,0x7e]

v_rcp_legacy_f32 v5, tba_hi
// CHECK: v_rcp_legacy_f32_e32 v5, tba_hi         ; encoding: [0x6d,0x52,0x0a,0x7e]

v_rcp_legacy_f32 v5, tba_lo
// CHECK: v_rcp_legacy_f32_e32 v5, tba_lo         ; encoding: [0x6c,0x52,0x0a,0x7e]

v_rcp_legacy_f32 v5, tma_hi
// CHECK: v_rcp_legacy_f32_e32 v5, tma_hi         ; encoding: [0x6f,0x52,0x0a,0x7e]

v_rcp_legacy_f32 v5, tma_lo
// CHECK: v_rcp_legacy_f32_e32 v5, tma_lo         ; encoding: [0x6e,0x52,0x0a,0x7e]

v_rcp_legacy_f32 v5, ttmp11
// CHECK: v_rcp_legacy_f32_e32 v5, ttmp11         ; encoding: [0x7b,0x52,0x0a,0x7e]

v_rcp_legacy_f32 v5, v1
// CHECK: v_rcp_legacy_f32_e32 v5, v1             ; encoding: [0x01,0x53,0x0a,0x7e]

v_rcp_legacy_f32 v5, v255
// CHECK: v_rcp_legacy_f32_e32 v5, v255           ; encoding: [0xff,0x53,0x0a,0x7e]

v_rcp_legacy_f32 v5, vcc_hi
// CHECK: v_rcp_legacy_f32_e32 v5, vcc_hi         ; encoding: [0x6b,0x52,0x0a,0x7e]

v_rcp_legacy_f32 v5, vcc_lo
// CHECK: v_rcp_legacy_f32_e32 v5, vcc_lo         ; encoding: [0x6a,0x52,0x0a,0x7e]

v_readfirstlane_b32 s103, v1
// CHECK: v_readfirstlane_b32 s103, v1            ; encoding: [0x01,0x05,0xce,0x7e]

v_readfirstlane_b32 s5, src_lds_direct
// CHECK: v_readfirstlane_b32 s5, src_lds_direct  ; encoding: [0xfe,0x04,0x0a,0x7e]

v_readfirstlane_b32 s5, v1
// CHECK: v_readfirstlane_b32 s5, v1              ; encoding: [0x01,0x05,0x0a,0x7e]

v_readfirstlane_b32 s5, v255
// CHECK: v_readfirstlane_b32 s5, v255            ; encoding: [0xff,0x05,0x0a,0x7e]

v_readfirstlane_b32 tba_hi, v1
// CHECK: v_readfirstlane_b32 tba_hi, v1          ; encoding: [0x01,0x05,0xda,0x7e]

v_readfirstlane_b32 tba_lo, v1
// CHECK: v_readfirstlane_b32 tba_lo, v1          ; encoding: [0x01,0x05,0xd8,0x7e]

v_readfirstlane_b32 tma_hi, v1
// CHECK: v_readfirstlane_b32 tma_hi, v1          ; encoding: [0x01,0x05,0xde,0x7e]

v_readfirstlane_b32 tma_lo, v1
// CHECK: v_readfirstlane_b32 tma_lo, v1          ; encoding: [0x01,0x05,0xdc,0x7e]

v_readfirstlane_b32 ttmp11, v1
// CHECK: v_readfirstlane_b32 ttmp11, v1          ; encoding: [0x01,0x05,0xf6,0x7e]

v_rndne_f32 v255, v1
// CHECK: v_rndne_f32_e32 v255, v1                ; encoding: [0x01,0x47,0xfe,0x7f]

v_rndne_f32 v5, -1
// CHECK: v_rndne_f32_e32 v5, -1                  ; encoding: [0xc1,0x46,0x0a,0x7e]

v_rndne_f32 v5, -4.0
// CHECK: v_rndne_f32_e32 v5, -4.0                ; encoding: [0xf7,0x46,0x0a,0x7e]

v_rndne_f32 v5, 0
// CHECK: v_rndne_f32_e32 v5, 0                   ; encoding: [0x80,0x46,0x0a,0x7e]

v_rndne_f32 v5, 0.5
// CHECK: v_rndne_f32_e32 v5, 0.5                 ; encoding: [0xf0,0x46,0x0a,0x7e]

v_rndne_f32 v5, 0x3f717273
// CHECK: v_rndne_f32_e32 v5, 0x3f717273          ; encoding: [0xff,0x46,0x0a,0x7e,0x73,0x72,0x71,0x3f]

v_rndne_f32 v5, 0xaf123456
// CHECK: v_rndne_f32_e32 v5, 0xaf123456          ; encoding: [0xff,0x46,0x0a,0x7e,0x56,0x34,0x12,0xaf]

v_rndne_f32 v5, exec_hi
// CHECK: v_rndne_f32_e32 v5, exec_hi             ; encoding: [0x7f,0x46,0x0a,0x7e]

v_rndne_f32 v5, exec_lo
// CHECK: v_rndne_f32_e32 v5, exec_lo             ; encoding: [0x7e,0x46,0x0a,0x7e]

v_rndne_f32 v5, flat_scratch_hi
// CHECK: v_rndne_f32_e32 v5, flat_scratch_hi     ; encoding: [0x69,0x46,0x0a,0x7e]

v_rndne_f32 v5, flat_scratch_lo
// CHECK: v_rndne_f32_e32 v5, flat_scratch_lo     ; encoding: [0x68,0x46,0x0a,0x7e]

v_rndne_f32 v5, m0
// CHECK: v_rndne_f32_e32 v5, m0                  ; encoding: [0x7c,0x46,0x0a,0x7e]

v_rndne_f32 v5, s1
// CHECK: v_rndne_f32_e32 v5, s1                  ; encoding: [0x01,0x46,0x0a,0x7e]

v_rndne_f32 v5, s103
// CHECK: v_rndne_f32_e32 v5, s103                ; encoding: [0x67,0x46,0x0a,0x7e]

v_rndne_f32 v5, src_execz
// CHECK: v_rndne_f32_e32 v5, src_execz           ; encoding: [0xfc,0x46,0x0a,0x7e]

v_rndne_f32 v5, src_lds_direct
// CHECK: v_rndne_f32_e32 v5, src_lds_direct      ; encoding: [0xfe,0x46,0x0a,0x7e]

v_rndne_f32 v5, src_scc
// CHECK: v_rndne_f32_e32 v5, src_scc             ; encoding: [0xfd,0x46,0x0a,0x7e]

v_rndne_f32 v5, src_vccz
// CHECK: v_rndne_f32_e32 v5, src_vccz            ; encoding: [0xfb,0x46,0x0a,0x7e]

v_rndne_f32 v5, tba_hi
// CHECK: v_rndne_f32_e32 v5, tba_hi              ; encoding: [0x6d,0x46,0x0a,0x7e]

v_rndne_f32 v5, tba_lo
// CHECK: v_rndne_f32_e32 v5, tba_lo              ; encoding: [0x6c,0x46,0x0a,0x7e]

v_rndne_f32 v5, tma_hi
// CHECK: v_rndne_f32_e32 v5, tma_hi              ; encoding: [0x6f,0x46,0x0a,0x7e]

v_rndne_f32 v5, tma_lo
// CHECK: v_rndne_f32_e32 v5, tma_lo              ; encoding: [0x6e,0x46,0x0a,0x7e]

v_rndne_f32 v5, ttmp11
// CHECK: v_rndne_f32_e32 v5, ttmp11              ; encoding: [0x7b,0x46,0x0a,0x7e]

v_rndne_f32 v5, v1
// CHECK: v_rndne_f32_e32 v5, v1                  ; encoding: [0x01,0x47,0x0a,0x7e]

v_rndne_f32 v5, v255
// CHECK: v_rndne_f32_e32 v5, v255                ; encoding: [0xff,0x47,0x0a,0x7e]

v_rndne_f32 v5, vcc_hi
// CHECK: v_rndne_f32_e32 v5, vcc_hi              ; encoding: [0x6b,0x46,0x0a,0x7e]

v_rndne_f32 v5, vcc_lo
// CHECK: v_rndne_f32_e32 v5, vcc_lo              ; encoding: [0x6a,0x46,0x0a,0x7e]

v_rndne_f64 v[254:255], v[1:2]
// CHECK: v_rndne_f64_e32 v[254:255], v[1:2]      ; encoding: [0x01,0x33,0xfc,0x7f]

v_rndne_f64 v[5:6], -1
// CHECK: v_rndne_f64_e32 v[5:6], -1              ; encoding: [0xc1,0x32,0x0a,0x7e]

v_rndne_f64 v[5:6], -4.0
// CHECK: v_rndne_f64_e32 v[5:6], -4.0            ; encoding: [0xf7,0x32,0x0a,0x7e]

v_rndne_f64 v[5:6], 0
// CHECK: v_rndne_f64_e32 v[5:6], 0               ; encoding: [0x80,0x32,0x0a,0x7e]

v_rndne_f64 v[5:6], 0.5
// CHECK: v_rndne_f64_e32 v[5:6], 0.5             ; encoding: [0xf0,0x32,0x0a,0x7e]

v_rndne_f64 v[5:6], 0x3f717273
// CHECK: v_rndne_f64_e32 v[5:6], 0x3f717273      ; encoding: [0xff,0x32,0x0a,0x7e,0x73,0x72,0x71,0x3f]

v_rndne_f64 v[5:6], 0xaf123456
// CHECK: v_rndne_f64_e32 v[5:6], 0xaf123456      ; encoding: [0xff,0x32,0x0a,0x7e,0x56,0x34,0x12,0xaf]

v_rndne_f64 v[5:6], exec
// CHECK: v_rndne_f64_e32 v[5:6], exec            ; encoding: [0x7e,0x32,0x0a,0x7e]

v_rndne_f64 v[5:6], flat_scratch
// CHECK: v_rndne_f64_e32 v[5:6], flat_scratch    ; encoding: [0x68,0x32,0x0a,0x7e]

v_rndne_f64 v[5:6], s[102:103]
// CHECK: v_rndne_f64_e32 v[5:6], s[102:103]      ; encoding: [0x66,0x32,0x0a,0x7e]

v_rndne_f64 v[5:6], s[2:3]
// CHECK: v_rndne_f64_e32 v[5:6], s[2:3]          ; encoding: [0x02,0x32,0x0a,0x7e]

v_rndne_f64 v[5:6], s[4:5]
// CHECK: v_rndne_f64_e32 v[5:6], s[4:5]          ; encoding: [0x04,0x32,0x0a,0x7e]

v_rndne_f64 v[5:6], src_execz
// CHECK: v_rndne_f64_e32 v[5:6], src_execz       ; encoding: [0xfc,0x32,0x0a,0x7e]

v_rndne_f64 v[5:6], src_scc
// CHECK: v_rndne_f64_e32 v[5:6], src_scc         ; encoding: [0xfd,0x32,0x0a,0x7e]

v_rndne_f64 v[5:6], src_vccz
// CHECK: v_rndne_f64_e32 v[5:6], src_vccz        ; encoding: [0xfb,0x32,0x0a,0x7e]

v_rndne_f64 v[5:6], tba
// CHECK: v_rndne_f64_e32 v[5:6], tba             ; encoding: [0x6c,0x32,0x0a,0x7e]

v_rndne_f64 v[5:6], tma
// CHECK: v_rndne_f64_e32 v[5:6], tma             ; encoding: [0x6e,0x32,0x0a,0x7e]

v_rndne_f64 v[5:6], ttmp[10:11]
// CHECK: v_rndne_f64_e32 v[5:6], ttmp[10:11]     ; encoding: [0x7a,0x32,0x0a,0x7e]

v_rndne_f64 v[5:6], v[1:2]
// CHECK: v_rndne_f64_e32 v[5:6], v[1:2]          ; encoding: [0x01,0x33,0x0a,0x7e]

v_rndne_f64 v[5:6], v[254:255]
// CHECK: v_rndne_f64_e32 v[5:6], v[254:255]      ; encoding: [0xfe,0x33,0x0a,0x7e]

v_rndne_f64 v[5:6], vcc
// CHECK: v_rndne_f64_e32 v[5:6], vcc             ; encoding: [0x6a,0x32,0x0a,0x7e]

v_rsq_clamp_f32 v255, v1
// CHECK: v_rsq_clamp_f32_e32 v255, v1            ; encoding: [0x01,0x59,0xfe,0x7f]

v_rsq_clamp_f32 v5, -1
// CHECK: v_rsq_clamp_f32_e32 v5, -1              ; encoding: [0xc1,0x58,0x0a,0x7e]

v_rsq_clamp_f32 v5, -4.0
// CHECK: v_rsq_clamp_f32_e32 v5, -4.0            ; encoding: [0xf7,0x58,0x0a,0x7e]

v_rsq_clamp_f32 v5, 0
// CHECK: v_rsq_clamp_f32_e32 v5, 0               ; encoding: [0x80,0x58,0x0a,0x7e]

v_rsq_clamp_f32 v5, 0.5
// CHECK: v_rsq_clamp_f32_e32 v5, 0.5             ; encoding: [0xf0,0x58,0x0a,0x7e]

v_rsq_clamp_f32 v5, 0x3f717273
// CHECK: v_rsq_clamp_f32_e32 v5, 0x3f717273      ; encoding: [0xff,0x58,0x0a,0x7e,0x73,0x72,0x71,0x3f]

v_rsq_clamp_f32 v5, 0xaf123456
// CHECK: v_rsq_clamp_f32_e32 v5, 0xaf123456      ; encoding: [0xff,0x58,0x0a,0x7e,0x56,0x34,0x12,0xaf]

v_rsq_clamp_f32 v5, exec_hi
// CHECK: v_rsq_clamp_f32_e32 v5, exec_hi         ; encoding: [0x7f,0x58,0x0a,0x7e]

v_rsq_clamp_f32 v5, exec_lo
// CHECK: v_rsq_clamp_f32_e32 v5, exec_lo         ; encoding: [0x7e,0x58,0x0a,0x7e]

v_rsq_clamp_f32 v5, flat_scratch_hi
// CHECK: v_rsq_clamp_f32_e32 v5, flat_scratch_hi ; encoding: [0x69,0x58,0x0a,0x7e]

v_rsq_clamp_f32 v5, flat_scratch_lo
// CHECK: v_rsq_clamp_f32_e32 v5, flat_scratch_lo ; encoding: [0x68,0x58,0x0a,0x7e]

v_rsq_clamp_f32 v5, m0
// CHECK: v_rsq_clamp_f32_e32 v5, m0              ; encoding: [0x7c,0x58,0x0a,0x7e]

v_rsq_clamp_f32 v5, s1
// CHECK: v_rsq_clamp_f32_e32 v5, s1              ; encoding: [0x01,0x58,0x0a,0x7e]

v_rsq_clamp_f32 v5, s103
// CHECK: v_rsq_clamp_f32_e32 v5, s103            ; encoding: [0x67,0x58,0x0a,0x7e]

v_rsq_clamp_f32 v5, src_execz
// CHECK: v_rsq_clamp_f32_e32 v5, src_execz       ; encoding: [0xfc,0x58,0x0a,0x7e]

v_rsq_clamp_f32 v5, src_lds_direct
// CHECK: v_rsq_clamp_f32_e32 v5, src_lds_direct  ; encoding: [0xfe,0x58,0x0a,0x7e]

v_rsq_clamp_f32 v5, src_scc
// CHECK: v_rsq_clamp_f32_e32 v5, src_scc         ; encoding: [0xfd,0x58,0x0a,0x7e]

v_rsq_clamp_f32 v5, src_vccz
// CHECK: v_rsq_clamp_f32_e32 v5, src_vccz        ; encoding: [0xfb,0x58,0x0a,0x7e]

v_rsq_clamp_f32 v5, tba_hi
// CHECK: v_rsq_clamp_f32_e32 v5, tba_hi          ; encoding: [0x6d,0x58,0x0a,0x7e]

v_rsq_clamp_f32 v5, tba_lo
// CHECK: v_rsq_clamp_f32_e32 v5, tba_lo          ; encoding: [0x6c,0x58,0x0a,0x7e]

v_rsq_clamp_f32 v5, tma_hi
// CHECK: v_rsq_clamp_f32_e32 v5, tma_hi          ; encoding: [0x6f,0x58,0x0a,0x7e]

v_rsq_clamp_f32 v5, tma_lo
// CHECK: v_rsq_clamp_f32_e32 v5, tma_lo          ; encoding: [0x6e,0x58,0x0a,0x7e]

v_rsq_clamp_f32 v5, ttmp11
// CHECK: v_rsq_clamp_f32_e32 v5, ttmp11          ; encoding: [0x7b,0x58,0x0a,0x7e]

v_rsq_clamp_f32 v5, v1
// CHECK: v_rsq_clamp_f32_e32 v5, v1              ; encoding: [0x01,0x59,0x0a,0x7e]

v_rsq_clamp_f32 v5, v255
// CHECK: v_rsq_clamp_f32_e32 v5, v255            ; encoding: [0xff,0x59,0x0a,0x7e]

v_rsq_clamp_f32 v5, vcc_hi
// CHECK: v_rsq_clamp_f32_e32 v5, vcc_hi          ; encoding: [0x6b,0x58,0x0a,0x7e]

v_rsq_clamp_f32 v5, vcc_lo
// CHECK: v_rsq_clamp_f32_e32 v5, vcc_lo          ; encoding: [0x6a,0x58,0x0a,0x7e]

v_rsq_clamp_f64 v[254:255], v[1:2]
// CHECK: v_rsq_clamp_f64_e32 v[254:255], v[1:2]  ; encoding: [0x01,0x65,0xfc,0x7f]

v_rsq_clamp_f64 v[5:6], -1
// CHECK: v_rsq_clamp_f64_e32 v[5:6], -1          ; encoding: [0xc1,0x64,0x0a,0x7e]

v_rsq_clamp_f64 v[5:6], -4.0
// CHECK: v_rsq_clamp_f64_e32 v[5:6], -4.0        ; encoding: [0xf7,0x64,0x0a,0x7e]

v_rsq_clamp_f64 v[5:6], 0
// CHECK: v_rsq_clamp_f64_e32 v[5:6], 0           ; encoding: [0x80,0x64,0x0a,0x7e]

v_rsq_clamp_f64 v[5:6], 0.5
// CHECK: v_rsq_clamp_f64_e32 v[5:6], 0.5         ; encoding: [0xf0,0x64,0x0a,0x7e]

v_rsq_clamp_f64 v[5:6], 0x3f717273
// CHECK: v_rsq_clamp_f64_e32 v[5:6], 0x3f717273  ; encoding: [0xff,0x64,0x0a,0x7e,0x73,0x72,0x71,0x3f]

v_rsq_clamp_f64 v[5:6], 0xaf123456
// CHECK: v_rsq_clamp_f64_e32 v[5:6], 0xaf123456  ; encoding: [0xff,0x64,0x0a,0x7e,0x56,0x34,0x12,0xaf]

v_rsq_clamp_f64 v[5:6], exec
// CHECK: v_rsq_clamp_f64_e32 v[5:6], exec        ; encoding: [0x7e,0x64,0x0a,0x7e]

v_rsq_clamp_f64 v[5:6], flat_scratch
// CHECK: v_rsq_clamp_f64_e32 v[5:6], flat_scratch ; encoding: [0x68,0x64,0x0a,0x7e]

v_rsq_clamp_f64 v[5:6], s[102:103]
// CHECK: v_rsq_clamp_f64_e32 v[5:6], s[102:103]  ; encoding: [0x66,0x64,0x0a,0x7e]

v_rsq_clamp_f64 v[5:6], s[2:3]
// CHECK: v_rsq_clamp_f64_e32 v[5:6], s[2:3]      ; encoding: [0x02,0x64,0x0a,0x7e]

v_rsq_clamp_f64 v[5:6], s[4:5]
// CHECK: v_rsq_clamp_f64_e32 v[5:6], s[4:5]      ; encoding: [0x04,0x64,0x0a,0x7e]

v_rsq_clamp_f64 v[5:6], src_execz
// CHECK: v_rsq_clamp_f64_e32 v[5:6], src_execz   ; encoding: [0xfc,0x64,0x0a,0x7e]

v_rsq_clamp_f64 v[5:6], src_scc
// CHECK: v_rsq_clamp_f64_e32 v[5:6], src_scc     ; encoding: [0xfd,0x64,0x0a,0x7e]

v_rsq_clamp_f64 v[5:6], src_vccz
// CHECK: v_rsq_clamp_f64_e32 v[5:6], src_vccz    ; encoding: [0xfb,0x64,0x0a,0x7e]

v_rsq_clamp_f64 v[5:6], tba
// CHECK: v_rsq_clamp_f64_e32 v[5:6], tba         ; encoding: [0x6c,0x64,0x0a,0x7e]

v_rsq_clamp_f64 v[5:6], tma
// CHECK: v_rsq_clamp_f64_e32 v[5:6], tma         ; encoding: [0x6e,0x64,0x0a,0x7e]

v_rsq_clamp_f64 v[5:6], ttmp[10:11]
// CHECK: v_rsq_clamp_f64_e32 v[5:6], ttmp[10:11] ; encoding: [0x7a,0x64,0x0a,0x7e]

v_rsq_clamp_f64 v[5:6], v[1:2]
// CHECK: v_rsq_clamp_f64_e32 v[5:6], v[1:2]      ; encoding: [0x01,0x65,0x0a,0x7e]

v_rsq_clamp_f64 v[5:6], v[254:255]
// CHECK: v_rsq_clamp_f64_e32 v[5:6], v[254:255]  ; encoding: [0xfe,0x65,0x0a,0x7e]

v_rsq_clamp_f64 v[5:6], vcc
// CHECK: v_rsq_clamp_f64_e32 v[5:6], vcc         ; encoding: [0x6a,0x64,0x0a,0x7e]

v_rsq_f32 v255, v1
// CHECK: v_rsq_f32_e32 v255, v1                  ; encoding: [0x01,0x5d,0xfe,0x7f]

v_rsq_f32 v5, -1
// CHECK: v_rsq_f32_e32 v5, -1                    ; encoding: [0xc1,0x5c,0x0a,0x7e]

v_rsq_f32 v5, -4.0
// CHECK: v_rsq_f32_e32 v5, -4.0                  ; encoding: [0xf7,0x5c,0x0a,0x7e]

v_rsq_f32 v5, 0
// CHECK: v_rsq_f32_e32 v5, 0                     ; encoding: [0x80,0x5c,0x0a,0x7e]

v_rsq_f32 v5, 0.5
// CHECK: v_rsq_f32_e32 v5, 0.5                   ; encoding: [0xf0,0x5c,0x0a,0x7e]

v_rsq_f32 v5, 0x3f717273
// CHECK: v_rsq_f32_e32 v5, 0x3f717273            ; encoding: [0xff,0x5c,0x0a,0x7e,0x73,0x72,0x71,0x3f]

v_rsq_f32 v5, 0xaf123456
// CHECK: v_rsq_f32_e32 v5, 0xaf123456            ; encoding: [0xff,0x5c,0x0a,0x7e,0x56,0x34,0x12,0xaf]

v_rsq_f32 v5, exec_hi
// CHECK: v_rsq_f32_e32 v5, exec_hi               ; encoding: [0x7f,0x5c,0x0a,0x7e]

v_rsq_f32 v5, exec_lo
// CHECK: v_rsq_f32_e32 v5, exec_lo               ; encoding: [0x7e,0x5c,0x0a,0x7e]

v_rsq_f32 v5, flat_scratch_hi
// CHECK: v_rsq_f32_e32 v5, flat_scratch_hi       ; encoding: [0x69,0x5c,0x0a,0x7e]

v_rsq_f32 v5, flat_scratch_lo
// CHECK: v_rsq_f32_e32 v5, flat_scratch_lo       ; encoding: [0x68,0x5c,0x0a,0x7e]

v_rsq_f32 v5, m0
// CHECK: v_rsq_f32_e32 v5, m0                    ; encoding: [0x7c,0x5c,0x0a,0x7e]

v_rsq_f32 v5, s1
// CHECK: v_rsq_f32_e32 v5, s1                    ; encoding: [0x01,0x5c,0x0a,0x7e]

v_rsq_f32 v5, s103
// CHECK: v_rsq_f32_e32 v5, s103                  ; encoding: [0x67,0x5c,0x0a,0x7e]

v_rsq_f32 v5, src_execz
// CHECK: v_rsq_f32_e32 v5, src_execz             ; encoding: [0xfc,0x5c,0x0a,0x7e]

v_rsq_f32 v5, src_lds_direct
// CHECK: v_rsq_f32_e32 v5, src_lds_direct        ; encoding: [0xfe,0x5c,0x0a,0x7e]

v_rsq_f32 v5, src_scc
// CHECK: v_rsq_f32_e32 v5, src_scc               ; encoding: [0xfd,0x5c,0x0a,0x7e]

v_rsq_f32 v5, src_vccz
// CHECK: v_rsq_f32_e32 v5, src_vccz              ; encoding: [0xfb,0x5c,0x0a,0x7e]

v_rsq_f32 v5, tba_hi
// CHECK: v_rsq_f32_e32 v5, tba_hi                ; encoding: [0x6d,0x5c,0x0a,0x7e]

v_rsq_f32 v5, tba_lo
// CHECK: v_rsq_f32_e32 v5, tba_lo                ; encoding: [0x6c,0x5c,0x0a,0x7e]

v_rsq_f32 v5, tma_hi
// CHECK: v_rsq_f32_e32 v5, tma_hi                ; encoding: [0x6f,0x5c,0x0a,0x7e]

v_rsq_f32 v5, tma_lo
// CHECK: v_rsq_f32_e32 v5, tma_lo                ; encoding: [0x6e,0x5c,0x0a,0x7e]

v_rsq_f32 v5, ttmp11
// CHECK: v_rsq_f32_e32 v5, ttmp11                ; encoding: [0x7b,0x5c,0x0a,0x7e]

v_rsq_f32 v5, v1
// CHECK: v_rsq_f32_e32 v5, v1                    ; encoding: [0x01,0x5d,0x0a,0x7e]

v_rsq_f32 v5, v255
// CHECK: v_rsq_f32_e32 v5, v255                  ; encoding: [0xff,0x5d,0x0a,0x7e]

v_rsq_f32 v5, vcc_hi
// CHECK: v_rsq_f32_e32 v5, vcc_hi                ; encoding: [0x6b,0x5c,0x0a,0x7e]

v_rsq_f32 v5, vcc_lo
// CHECK: v_rsq_f32_e32 v5, vcc_lo                ; encoding: [0x6a,0x5c,0x0a,0x7e]

v_rsq_f64 v[254:255], v[1:2]
// CHECK: v_rsq_f64_e32 v[254:255], v[1:2]        ; encoding: [0x01,0x63,0xfc,0x7f]

v_rsq_f64 v[5:6], -1
// CHECK: v_rsq_f64_e32 v[5:6], -1                ; encoding: [0xc1,0x62,0x0a,0x7e]

v_rsq_f64 v[5:6], -4.0
// CHECK: v_rsq_f64_e32 v[5:6], -4.0              ; encoding: [0xf7,0x62,0x0a,0x7e]

v_rsq_f64 v[5:6], 0
// CHECK: v_rsq_f64_e32 v[5:6], 0                 ; encoding: [0x80,0x62,0x0a,0x7e]

v_rsq_f64 v[5:6], 0.5
// CHECK: v_rsq_f64_e32 v[5:6], 0.5               ; encoding: [0xf0,0x62,0x0a,0x7e]

v_rsq_f64 v[5:6], 0x3f717273
// CHECK: v_rsq_f64_e32 v[5:6], 0x3f717273        ; encoding: [0xff,0x62,0x0a,0x7e,0x73,0x72,0x71,0x3f]

v_rsq_f64 v[5:6], 0xaf123456
// CHECK: v_rsq_f64_e32 v[5:6], 0xaf123456        ; encoding: [0xff,0x62,0x0a,0x7e,0x56,0x34,0x12,0xaf]

v_rsq_f64 v[5:6], exec
// CHECK: v_rsq_f64_e32 v[5:6], exec              ; encoding: [0x7e,0x62,0x0a,0x7e]

v_rsq_f64 v[5:6], flat_scratch
// CHECK: v_rsq_f64_e32 v[5:6], flat_scratch      ; encoding: [0x68,0x62,0x0a,0x7e]

v_rsq_f64 v[5:6], s[102:103]
// CHECK: v_rsq_f64_e32 v[5:6], s[102:103]        ; encoding: [0x66,0x62,0x0a,0x7e]

v_rsq_f64 v[5:6], s[2:3]
// CHECK: v_rsq_f64_e32 v[5:6], s[2:3]            ; encoding: [0x02,0x62,0x0a,0x7e]

v_rsq_f64 v[5:6], s[4:5]
// CHECK: v_rsq_f64_e32 v[5:6], s[4:5]            ; encoding: [0x04,0x62,0x0a,0x7e]

v_rsq_f64 v[5:6], src_execz
// CHECK: v_rsq_f64_e32 v[5:6], src_execz         ; encoding: [0xfc,0x62,0x0a,0x7e]

v_rsq_f64 v[5:6], src_scc
// CHECK: v_rsq_f64_e32 v[5:6], src_scc           ; encoding: [0xfd,0x62,0x0a,0x7e]

v_rsq_f64 v[5:6], src_vccz
// CHECK: v_rsq_f64_e32 v[5:6], src_vccz          ; encoding: [0xfb,0x62,0x0a,0x7e]

v_rsq_f64 v[5:6], tba
// CHECK: v_rsq_f64_e32 v[5:6], tba               ; encoding: [0x6c,0x62,0x0a,0x7e]

v_rsq_f64 v[5:6], tma
// CHECK: v_rsq_f64_e32 v[5:6], tma               ; encoding: [0x6e,0x62,0x0a,0x7e]

v_rsq_f64 v[5:6], ttmp[10:11]
// CHECK: v_rsq_f64_e32 v[5:6], ttmp[10:11]       ; encoding: [0x7a,0x62,0x0a,0x7e]

v_rsq_f64 v[5:6], v[1:2]
// CHECK: v_rsq_f64_e32 v[5:6], v[1:2]            ; encoding: [0x01,0x63,0x0a,0x7e]

v_rsq_f64 v[5:6], v[254:255]
// CHECK: v_rsq_f64_e32 v[5:6], v[254:255]        ; encoding: [0xfe,0x63,0x0a,0x7e]

v_rsq_f64 v[5:6], vcc
// CHECK: v_rsq_f64_e32 v[5:6], vcc               ; encoding: [0x6a,0x62,0x0a,0x7e]

v_rsq_legacy_f32 v255, v1
// CHECK: v_rsq_legacy_f32_e32 v255, v1           ; encoding: [0x01,0x5b,0xfe,0x7f]

v_rsq_legacy_f32 v5, -1
// CHECK: v_rsq_legacy_f32_e32 v5, -1             ; encoding: [0xc1,0x5a,0x0a,0x7e]

v_rsq_legacy_f32 v5, -4.0
// CHECK: v_rsq_legacy_f32_e32 v5, -4.0           ; encoding: [0xf7,0x5a,0x0a,0x7e]

v_rsq_legacy_f32 v5, 0
// CHECK: v_rsq_legacy_f32_e32 v5, 0              ; encoding: [0x80,0x5a,0x0a,0x7e]

v_rsq_legacy_f32 v5, 0.5
// CHECK: v_rsq_legacy_f32_e32 v5, 0.5            ; encoding: [0xf0,0x5a,0x0a,0x7e]

v_rsq_legacy_f32 v5, 0x3f717273
// CHECK: v_rsq_legacy_f32_e32 v5, 0x3f717273     ; encoding: [0xff,0x5a,0x0a,0x7e,0x73,0x72,0x71,0x3f]

v_rsq_legacy_f32 v5, 0xaf123456
// CHECK: v_rsq_legacy_f32_e32 v5, 0xaf123456     ; encoding: [0xff,0x5a,0x0a,0x7e,0x56,0x34,0x12,0xaf]

v_rsq_legacy_f32 v5, exec_hi
// CHECK: v_rsq_legacy_f32_e32 v5, exec_hi        ; encoding: [0x7f,0x5a,0x0a,0x7e]

v_rsq_legacy_f32 v5, exec_lo
// CHECK: v_rsq_legacy_f32_e32 v5, exec_lo        ; encoding: [0x7e,0x5a,0x0a,0x7e]

v_rsq_legacy_f32 v5, flat_scratch_hi
// CHECK: v_rsq_legacy_f32_e32 v5, flat_scratch_hi ; encoding: [0x69,0x5a,0x0a,0x7e]

v_rsq_legacy_f32 v5, flat_scratch_lo
// CHECK: v_rsq_legacy_f32_e32 v5, flat_scratch_lo ; encoding: [0x68,0x5a,0x0a,0x7e]

v_rsq_legacy_f32 v5, m0
// CHECK: v_rsq_legacy_f32_e32 v5, m0             ; encoding: [0x7c,0x5a,0x0a,0x7e]

v_rsq_legacy_f32 v5, s1
// CHECK: v_rsq_legacy_f32_e32 v5, s1             ; encoding: [0x01,0x5a,0x0a,0x7e]

v_rsq_legacy_f32 v5, s103
// CHECK: v_rsq_legacy_f32_e32 v5, s103           ; encoding: [0x67,0x5a,0x0a,0x7e]

v_rsq_legacy_f32 v5, src_execz
// CHECK: v_rsq_legacy_f32_e32 v5, src_execz      ; encoding: [0xfc,0x5a,0x0a,0x7e]

v_rsq_legacy_f32 v5, src_lds_direct
// CHECK: v_rsq_legacy_f32_e32 v5, src_lds_direct ; encoding: [0xfe,0x5a,0x0a,0x7e]

v_rsq_legacy_f32 v5, src_scc
// CHECK: v_rsq_legacy_f32_e32 v5, src_scc        ; encoding: [0xfd,0x5a,0x0a,0x7e]

v_rsq_legacy_f32 v5, src_vccz
// CHECK: v_rsq_legacy_f32_e32 v5, src_vccz       ; encoding: [0xfb,0x5a,0x0a,0x7e]

v_rsq_legacy_f32 v5, tba_hi
// CHECK: v_rsq_legacy_f32_e32 v5, tba_hi         ; encoding: [0x6d,0x5a,0x0a,0x7e]

v_rsq_legacy_f32 v5, tba_lo
// CHECK: v_rsq_legacy_f32_e32 v5, tba_lo         ; encoding: [0x6c,0x5a,0x0a,0x7e]

v_rsq_legacy_f32 v5, tma_hi
// CHECK: v_rsq_legacy_f32_e32 v5, tma_hi         ; encoding: [0x6f,0x5a,0x0a,0x7e]

v_rsq_legacy_f32 v5, tma_lo
// CHECK: v_rsq_legacy_f32_e32 v5, tma_lo         ; encoding: [0x6e,0x5a,0x0a,0x7e]

v_rsq_legacy_f32 v5, ttmp11
// CHECK: v_rsq_legacy_f32_e32 v5, ttmp11         ; encoding: [0x7b,0x5a,0x0a,0x7e]

v_rsq_legacy_f32 v5, v1
// CHECK: v_rsq_legacy_f32_e32 v5, v1             ; encoding: [0x01,0x5b,0x0a,0x7e]

v_rsq_legacy_f32 v5, v255
// CHECK: v_rsq_legacy_f32_e32 v5, v255           ; encoding: [0xff,0x5b,0x0a,0x7e]

v_rsq_legacy_f32 v5, vcc_hi
// CHECK: v_rsq_legacy_f32_e32 v5, vcc_hi         ; encoding: [0x6b,0x5a,0x0a,0x7e]

v_rsq_legacy_f32 v5, vcc_lo
// CHECK: v_rsq_legacy_f32_e32 v5, vcc_lo         ; encoding: [0x6a,0x5a,0x0a,0x7e]

v_sin_f32 v255, v1
// CHECK: v_sin_f32_e32 v255, v1                  ; encoding: [0x01,0x6b,0xfe,0x7f]

v_sin_f32 v5, -1
// CHECK: v_sin_f32_e32 v5, -1                    ; encoding: [0xc1,0x6a,0x0a,0x7e]

v_sin_f32 v5, -4.0
// CHECK: v_sin_f32_e32 v5, -4.0                  ; encoding: [0xf7,0x6a,0x0a,0x7e]

v_sin_f32 v5, 0
// CHECK: v_sin_f32_e32 v5, 0                     ; encoding: [0x80,0x6a,0x0a,0x7e]

v_sin_f32 v5, 0.5
// CHECK: v_sin_f32_e32 v5, 0.5                   ; encoding: [0xf0,0x6a,0x0a,0x7e]

v_sin_f32 v5, 0x3f717273
// CHECK: v_sin_f32_e32 v5, 0x3f717273            ; encoding: [0xff,0x6a,0x0a,0x7e,0x73,0x72,0x71,0x3f]

v_sin_f32 v5, 0xaf123456
// CHECK: v_sin_f32_e32 v5, 0xaf123456            ; encoding: [0xff,0x6a,0x0a,0x7e,0x56,0x34,0x12,0xaf]

v_sin_f32 v5, exec_hi
// CHECK: v_sin_f32_e32 v5, exec_hi               ; encoding: [0x7f,0x6a,0x0a,0x7e]

v_sin_f32 v5, exec_lo
// CHECK: v_sin_f32_e32 v5, exec_lo               ; encoding: [0x7e,0x6a,0x0a,0x7e]

v_sin_f32 v5, flat_scratch_hi
// CHECK: v_sin_f32_e32 v5, flat_scratch_hi       ; encoding: [0x69,0x6a,0x0a,0x7e]

v_sin_f32 v5, flat_scratch_lo
// CHECK: v_sin_f32_e32 v5, flat_scratch_lo       ; encoding: [0x68,0x6a,0x0a,0x7e]

v_sin_f32 v5, m0
// CHECK: v_sin_f32_e32 v5, m0                    ; encoding: [0x7c,0x6a,0x0a,0x7e]

v_sin_f32 v5, s1
// CHECK: v_sin_f32_e32 v5, s1                    ; encoding: [0x01,0x6a,0x0a,0x7e]

v_sin_f32 v5, s103
// CHECK: v_sin_f32_e32 v5, s103                  ; encoding: [0x67,0x6a,0x0a,0x7e]

v_sin_f32 v5, src_execz
// CHECK: v_sin_f32_e32 v5, src_execz             ; encoding: [0xfc,0x6a,0x0a,0x7e]

v_sin_f32 v5, src_lds_direct
// CHECK: v_sin_f32_e32 v5, src_lds_direct        ; encoding: [0xfe,0x6a,0x0a,0x7e]

v_sin_f32 v5, src_scc
// CHECK: v_sin_f32_e32 v5, src_scc               ; encoding: [0xfd,0x6a,0x0a,0x7e]

v_sin_f32 v5, src_vccz
// CHECK: v_sin_f32_e32 v5, src_vccz              ; encoding: [0xfb,0x6a,0x0a,0x7e]

v_sin_f32 v5, tba_hi
// CHECK: v_sin_f32_e32 v5, tba_hi                ; encoding: [0x6d,0x6a,0x0a,0x7e]

v_sin_f32 v5, tba_lo
// CHECK: v_sin_f32_e32 v5, tba_lo                ; encoding: [0x6c,0x6a,0x0a,0x7e]

v_sin_f32 v5, tma_hi
// CHECK: v_sin_f32_e32 v5, tma_hi                ; encoding: [0x6f,0x6a,0x0a,0x7e]

v_sin_f32 v5, tma_lo
// CHECK: v_sin_f32_e32 v5, tma_lo                ; encoding: [0x6e,0x6a,0x0a,0x7e]

v_sin_f32 v5, ttmp11
// CHECK: v_sin_f32_e32 v5, ttmp11                ; encoding: [0x7b,0x6a,0x0a,0x7e]

v_sin_f32 v5, v1
// CHECK: v_sin_f32_e32 v5, v1                    ; encoding: [0x01,0x6b,0x0a,0x7e]

v_sin_f32 v5, v255
// CHECK: v_sin_f32_e32 v5, v255                  ; encoding: [0xff,0x6b,0x0a,0x7e]

v_sin_f32 v5, vcc_hi
// CHECK: v_sin_f32_e32 v5, vcc_hi                ; encoding: [0x6b,0x6a,0x0a,0x7e]

v_sin_f32 v5, vcc_lo
// CHECK: v_sin_f32_e32 v5, vcc_lo                ; encoding: [0x6a,0x6a,0x0a,0x7e]

v_sqrt_f32 v255, v1
// CHECK: v_sqrt_f32_e32 v255, v1                 ; encoding: [0x01,0x67,0xfe,0x7f]

v_sqrt_f32 v5, -1
// CHECK: v_sqrt_f32_e32 v5, -1                   ; encoding: [0xc1,0x66,0x0a,0x7e]

v_sqrt_f32 v5, -4.0
// CHECK: v_sqrt_f32_e32 v5, -4.0                 ; encoding: [0xf7,0x66,0x0a,0x7e]

v_sqrt_f32 v5, 0
// CHECK: v_sqrt_f32_e32 v5, 0                    ; encoding: [0x80,0x66,0x0a,0x7e]

v_sqrt_f32 v5, 0.5
// CHECK: v_sqrt_f32_e32 v5, 0.5                  ; encoding: [0xf0,0x66,0x0a,0x7e]

v_sqrt_f32 v5, 0x3f717273
// CHECK: v_sqrt_f32_e32 v5, 0x3f717273           ; encoding: [0xff,0x66,0x0a,0x7e,0x73,0x72,0x71,0x3f]

v_sqrt_f32 v5, 0xaf123456
// CHECK: v_sqrt_f32_e32 v5, 0xaf123456           ; encoding: [0xff,0x66,0x0a,0x7e,0x56,0x34,0x12,0xaf]

v_sqrt_f32 v5, exec_hi
// CHECK: v_sqrt_f32_e32 v5, exec_hi              ; encoding: [0x7f,0x66,0x0a,0x7e]

v_sqrt_f32 v5, exec_lo
// CHECK: v_sqrt_f32_e32 v5, exec_lo              ; encoding: [0x7e,0x66,0x0a,0x7e]

v_sqrt_f32 v5, flat_scratch_hi
// CHECK: v_sqrt_f32_e32 v5, flat_scratch_hi      ; encoding: [0x69,0x66,0x0a,0x7e]

v_sqrt_f32 v5, flat_scratch_lo
// CHECK: v_sqrt_f32_e32 v5, flat_scratch_lo      ; encoding: [0x68,0x66,0x0a,0x7e]

v_sqrt_f32 v5, m0
// CHECK: v_sqrt_f32_e32 v5, m0                   ; encoding: [0x7c,0x66,0x0a,0x7e]

v_sqrt_f32 v5, s1
// CHECK: v_sqrt_f32_e32 v5, s1                   ; encoding: [0x01,0x66,0x0a,0x7e]

v_sqrt_f32 v5, s103
// CHECK: v_sqrt_f32_e32 v5, s103                 ; encoding: [0x67,0x66,0x0a,0x7e]

v_sqrt_f32 v5, src_execz
// CHECK: v_sqrt_f32_e32 v5, src_execz            ; encoding: [0xfc,0x66,0x0a,0x7e]

v_sqrt_f32 v5, src_lds_direct
// CHECK: v_sqrt_f32_e32 v5, src_lds_direct       ; encoding: [0xfe,0x66,0x0a,0x7e]

v_sqrt_f32 v5, src_scc
// CHECK: v_sqrt_f32_e32 v5, src_scc              ; encoding: [0xfd,0x66,0x0a,0x7e]

v_sqrt_f32 v5, src_vccz
// CHECK: v_sqrt_f32_e32 v5, src_vccz             ; encoding: [0xfb,0x66,0x0a,0x7e]

v_sqrt_f32 v5, tba_hi
// CHECK: v_sqrt_f32_e32 v5, tba_hi               ; encoding: [0x6d,0x66,0x0a,0x7e]

v_sqrt_f32 v5, tba_lo
// CHECK: v_sqrt_f32_e32 v5, tba_lo               ; encoding: [0x6c,0x66,0x0a,0x7e]

v_sqrt_f32 v5, tma_hi
// CHECK: v_sqrt_f32_e32 v5, tma_hi               ; encoding: [0x6f,0x66,0x0a,0x7e]

v_sqrt_f32 v5, tma_lo
// CHECK: v_sqrt_f32_e32 v5, tma_lo               ; encoding: [0x6e,0x66,0x0a,0x7e]

v_sqrt_f32 v5, ttmp11
// CHECK: v_sqrt_f32_e32 v5, ttmp11               ; encoding: [0x7b,0x66,0x0a,0x7e]

v_sqrt_f32 v5, v1
// CHECK: v_sqrt_f32_e32 v5, v1                   ; encoding: [0x01,0x67,0x0a,0x7e]

v_sqrt_f32 v5, v255
// CHECK: v_sqrt_f32_e32 v5, v255                 ; encoding: [0xff,0x67,0x0a,0x7e]

v_sqrt_f32 v5, vcc_hi
// CHECK: v_sqrt_f32_e32 v5, vcc_hi               ; encoding: [0x6b,0x66,0x0a,0x7e]

v_sqrt_f32 v5, vcc_lo
// CHECK: v_sqrt_f32_e32 v5, vcc_lo               ; encoding: [0x6a,0x66,0x0a,0x7e]

v_sqrt_f64 v[254:255], v[1:2]
// CHECK: v_sqrt_f64_e32 v[254:255], v[1:2]       ; encoding: [0x01,0x69,0xfc,0x7f]

v_sqrt_f64 v[5:6], -1
// CHECK: v_sqrt_f64_e32 v[5:6], -1               ; encoding: [0xc1,0x68,0x0a,0x7e]

v_sqrt_f64 v[5:6], -4.0
// CHECK: v_sqrt_f64_e32 v[5:6], -4.0             ; encoding: [0xf7,0x68,0x0a,0x7e]

v_sqrt_f64 v[5:6], 0
// CHECK: v_sqrt_f64_e32 v[5:6], 0                ; encoding: [0x80,0x68,0x0a,0x7e]

v_sqrt_f64 v[5:6], 0.5
// CHECK: v_sqrt_f64_e32 v[5:6], 0.5              ; encoding: [0xf0,0x68,0x0a,0x7e]

v_sqrt_f64 v[5:6], 0x3f717273
// CHECK: v_sqrt_f64_e32 v[5:6], 0x3f717273       ; encoding: [0xff,0x68,0x0a,0x7e,0x73,0x72,0x71,0x3f]

v_sqrt_f64 v[5:6], 0xaf123456
// CHECK: v_sqrt_f64_e32 v[5:6], 0xaf123456       ; encoding: [0xff,0x68,0x0a,0x7e,0x56,0x34,0x12,0xaf]

v_sqrt_f64 v[5:6], exec
// CHECK: v_sqrt_f64_e32 v[5:6], exec             ; encoding: [0x7e,0x68,0x0a,0x7e]

v_sqrt_f64 v[5:6], flat_scratch
// CHECK: v_sqrt_f64_e32 v[5:6], flat_scratch     ; encoding: [0x68,0x68,0x0a,0x7e]

v_sqrt_f64 v[5:6], s[102:103]
// CHECK: v_sqrt_f64_e32 v[5:6], s[102:103]       ; encoding: [0x66,0x68,0x0a,0x7e]

v_sqrt_f64 v[5:6], s[2:3]
// CHECK: v_sqrt_f64_e32 v[5:6], s[2:3]           ; encoding: [0x02,0x68,0x0a,0x7e]

v_sqrt_f64 v[5:6], s[4:5]
// CHECK: v_sqrt_f64_e32 v[5:6], s[4:5]           ; encoding: [0x04,0x68,0x0a,0x7e]

v_sqrt_f64 v[5:6], src_execz
// CHECK: v_sqrt_f64_e32 v[5:6], src_execz        ; encoding: [0xfc,0x68,0x0a,0x7e]

v_sqrt_f64 v[5:6], src_scc
// CHECK: v_sqrt_f64_e32 v[5:6], src_scc          ; encoding: [0xfd,0x68,0x0a,0x7e]

v_sqrt_f64 v[5:6], src_vccz
// CHECK: v_sqrt_f64_e32 v[5:6], src_vccz         ; encoding: [0xfb,0x68,0x0a,0x7e]

v_sqrt_f64 v[5:6], tba
// CHECK: v_sqrt_f64_e32 v[5:6], tba              ; encoding: [0x6c,0x68,0x0a,0x7e]

v_sqrt_f64 v[5:6], tma
// CHECK: v_sqrt_f64_e32 v[5:6], tma              ; encoding: [0x6e,0x68,0x0a,0x7e]

v_sqrt_f64 v[5:6], ttmp[10:11]
// CHECK: v_sqrt_f64_e32 v[5:6], ttmp[10:11]      ; encoding: [0x7a,0x68,0x0a,0x7e]

v_sqrt_f64 v[5:6], v[1:2]
// CHECK: v_sqrt_f64_e32 v[5:6], v[1:2]           ; encoding: [0x01,0x69,0x0a,0x7e]

v_sqrt_f64 v[5:6], v[254:255]
// CHECK: v_sqrt_f64_e32 v[5:6], v[254:255]       ; encoding: [0xfe,0x69,0x0a,0x7e]

v_sqrt_f64 v[5:6], vcc
// CHECK: v_sqrt_f64_e32 v[5:6], vcc              ; encoding: [0x6a,0x68,0x0a,0x7e]

v_trunc_f32 v255, v1
// CHECK: v_trunc_f32_e32 v255, v1                ; encoding: [0x01,0x43,0xfe,0x7f]

v_trunc_f32 v5, -1
// CHECK: v_trunc_f32_e32 v5, -1                  ; encoding: [0xc1,0x42,0x0a,0x7e]

v_trunc_f32 v5, -4.0
// CHECK: v_trunc_f32_e32 v5, -4.0                ; encoding: [0xf7,0x42,0x0a,0x7e]

v_trunc_f32 v5, 0
// CHECK: v_trunc_f32_e32 v5, 0                   ; encoding: [0x80,0x42,0x0a,0x7e]

v_trunc_f32 v5, 0.5
// CHECK: v_trunc_f32_e32 v5, 0.5                 ; encoding: [0xf0,0x42,0x0a,0x7e]

v_trunc_f32 v5, 0x3f717273
// CHECK: v_trunc_f32_e32 v5, 0x3f717273          ; encoding: [0xff,0x42,0x0a,0x7e,0x73,0x72,0x71,0x3f]

v_trunc_f32 v5, 0xaf123456
// CHECK: v_trunc_f32_e32 v5, 0xaf123456          ; encoding: [0xff,0x42,0x0a,0x7e,0x56,0x34,0x12,0xaf]

v_trunc_f32 v5, exec_hi
// CHECK: v_trunc_f32_e32 v5, exec_hi             ; encoding: [0x7f,0x42,0x0a,0x7e]

v_trunc_f32 v5, exec_lo
// CHECK: v_trunc_f32_e32 v5, exec_lo             ; encoding: [0x7e,0x42,0x0a,0x7e]

v_trunc_f32 v5, flat_scratch_hi
// CHECK: v_trunc_f32_e32 v5, flat_scratch_hi     ; encoding: [0x69,0x42,0x0a,0x7e]

v_trunc_f32 v5, flat_scratch_lo
// CHECK: v_trunc_f32_e32 v5, flat_scratch_lo     ; encoding: [0x68,0x42,0x0a,0x7e]

v_trunc_f32 v5, m0
// CHECK: v_trunc_f32_e32 v5, m0                  ; encoding: [0x7c,0x42,0x0a,0x7e]

v_trunc_f32 v5, s1
// CHECK: v_trunc_f32_e32 v5, s1                  ; encoding: [0x01,0x42,0x0a,0x7e]

v_trunc_f32 v5, s103
// CHECK: v_trunc_f32_e32 v5, s103                ; encoding: [0x67,0x42,0x0a,0x7e]

v_trunc_f32 v5, src_execz
// CHECK: v_trunc_f32_e32 v5, src_execz           ; encoding: [0xfc,0x42,0x0a,0x7e]

v_trunc_f32 v5, src_lds_direct
// CHECK: v_trunc_f32_e32 v5, src_lds_direct      ; encoding: [0xfe,0x42,0x0a,0x7e]

v_trunc_f32 v5, src_scc
// CHECK: v_trunc_f32_e32 v5, src_scc             ; encoding: [0xfd,0x42,0x0a,0x7e]

v_trunc_f32 v5, src_vccz
// CHECK: v_trunc_f32_e32 v5, src_vccz            ; encoding: [0xfb,0x42,0x0a,0x7e]

v_trunc_f32 v5, tba_hi
// CHECK: v_trunc_f32_e32 v5, tba_hi              ; encoding: [0x6d,0x42,0x0a,0x7e]

v_trunc_f32 v5, tba_lo
// CHECK: v_trunc_f32_e32 v5, tba_lo              ; encoding: [0x6c,0x42,0x0a,0x7e]

v_trunc_f32 v5, tma_hi
// CHECK: v_trunc_f32_e32 v5, tma_hi              ; encoding: [0x6f,0x42,0x0a,0x7e]

v_trunc_f32 v5, tma_lo
// CHECK: v_trunc_f32_e32 v5, tma_lo              ; encoding: [0x6e,0x42,0x0a,0x7e]

v_trunc_f32 v5, ttmp11
// CHECK: v_trunc_f32_e32 v5, ttmp11              ; encoding: [0x7b,0x42,0x0a,0x7e]

v_trunc_f32 v5, v1
// CHECK: v_trunc_f32_e32 v5, v1                  ; encoding: [0x01,0x43,0x0a,0x7e]

v_trunc_f32 v5, v255
// CHECK: v_trunc_f32_e32 v5, v255                ; encoding: [0xff,0x43,0x0a,0x7e]

v_trunc_f32 v5, vcc_hi
// CHECK: v_trunc_f32_e32 v5, vcc_hi              ; encoding: [0x6b,0x42,0x0a,0x7e]

v_trunc_f32 v5, vcc_lo
// CHECK: v_trunc_f32_e32 v5, vcc_lo              ; encoding: [0x6a,0x42,0x0a,0x7e]

v_trunc_f64 v[254:255], v[1:2]
// CHECK: v_trunc_f64_e32 v[254:255], v[1:2]      ; encoding: [0x01,0x2f,0xfc,0x7f]

v_trunc_f64 v[5:6], -1
// CHECK: v_trunc_f64_e32 v[5:6], -1              ; encoding: [0xc1,0x2e,0x0a,0x7e]

v_trunc_f64 v[5:6], -4.0
// CHECK: v_trunc_f64_e32 v[5:6], -4.0            ; encoding: [0xf7,0x2e,0x0a,0x7e]

v_trunc_f64 v[5:6], 0
// CHECK: v_trunc_f64_e32 v[5:6], 0               ; encoding: [0x80,0x2e,0x0a,0x7e]

v_trunc_f64 v[5:6], 0.5
// CHECK: v_trunc_f64_e32 v[5:6], 0.5             ; encoding: [0xf0,0x2e,0x0a,0x7e]

v_trunc_f64 v[5:6], 0x3f717273
// CHECK: v_trunc_f64_e32 v[5:6], 0x3f717273      ; encoding: [0xff,0x2e,0x0a,0x7e,0x73,0x72,0x71,0x3f]

v_trunc_f64 v[5:6], 0xaf123456
// CHECK: v_trunc_f64_e32 v[5:6], 0xaf123456      ; encoding: [0xff,0x2e,0x0a,0x7e,0x56,0x34,0x12,0xaf]

v_trunc_f64 v[5:6], exec
// CHECK: v_trunc_f64_e32 v[5:6], exec            ; encoding: [0x7e,0x2e,0x0a,0x7e]

v_trunc_f64 v[5:6], flat_scratch
// CHECK: v_trunc_f64_e32 v[5:6], flat_scratch    ; encoding: [0x68,0x2e,0x0a,0x7e]

v_trunc_f64 v[5:6], s[102:103]
// CHECK: v_trunc_f64_e32 v[5:6], s[102:103]      ; encoding: [0x66,0x2e,0x0a,0x7e]

v_trunc_f64 v[5:6], s[2:3]
// CHECK: v_trunc_f64_e32 v[5:6], s[2:3]          ; encoding: [0x02,0x2e,0x0a,0x7e]

v_trunc_f64 v[5:6], s[4:5]
// CHECK: v_trunc_f64_e32 v[5:6], s[4:5]          ; encoding: [0x04,0x2e,0x0a,0x7e]

v_trunc_f64 v[5:6], src_execz
// CHECK: v_trunc_f64_e32 v[5:6], src_execz       ; encoding: [0xfc,0x2e,0x0a,0x7e]

v_trunc_f64 v[5:6], src_scc
// CHECK: v_trunc_f64_e32 v[5:6], src_scc         ; encoding: [0xfd,0x2e,0x0a,0x7e]

v_trunc_f64 v[5:6], src_vccz
// CHECK: v_trunc_f64_e32 v[5:6], src_vccz        ; encoding: [0xfb,0x2e,0x0a,0x7e]

v_trunc_f64 v[5:6], tba
// CHECK: v_trunc_f64_e32 v[5:6], tba             ; encoding: [0x6c,0x2e,0x0a,0x7e]

v_trunc_f64 v[5:6], tma
// CHECK: v_trunc_f64_e32 v[5:6], tma             ; encoding: [0x6e,0x2e,0x0a,0x7e]

v_trunc_f64 v[5:6], ttmp[10:11]
// CHECK: v_trunc_f64_e32 v[5:6], ttmp[10:11]     ; encoding: [0x7a,0x2e,0x0a,0x7e]

v_trunc_f64 v[5:6], v[1:2]
// CHECK: v_trunc_f64_e32 v[5:6], v[1:2]          ; encoding: [0x01,0x2f,0x0a,0x7e]

v_trunc_f64 v[5:6], v[254:255]
// CHECK: v_trunc_f64_e32 v[5:6], v[254:255]      ; encoding: [0xfe,0x2f,0x0a,0x7e]

v_trunc_f64 v[5:6], vcc
// CHECK: v_trunc_f64_e32 v[5:6], vcc             ; encoding: [0x6a,0x2e,0x0a,0x7e]
